;; amdgpu-corpus repo=ROCm/rocFFT kind=compiled arch=gfx1030 opt=O3
	.text
	.amdgcn_target "amdgcn-amd-amdhsa--gfx1030"
	.amdhsa_code_object_version 6
	.protected	bluestein_single_fwd_len1500_dim1_dp_op_CI_CI ; -- Begin function bluestein_single_fwd_len1500_dim1_dp_op_CI_CI
	.globl	bluestein_single_fwd_len1500_dim1_dp_op_CI_CI
	.p2align	8
	.type	bluestein_single_fwd_len1500_dim1_dp_op_CI_CI,@function
bluestein_single_fwd_len1500_dim1_dp_op_CI_CI: ; @bluestein_single_fwd_len1500_dim1_dp_op_CI_CI
; %bb.0:
	s_load_dwordx4 s[8:11], s[4:5], 0x28
	v_mul_u32_u24_e32 v1, 0x1b5, v0
	v_mov_b32_e32 v193, 0
	s_mov_b32 s0, exec_lo
	v_lshrrev_b32_e32 v1, 16, v1
	v_add_nc_u32_e32 v192, s6, v1
	s_waitcnt lgkmcnt(0)
	v_cmpx_gt_u64_e64 s[8:9], v[192:193]
	s_cbranch_execz .LBB0_10
; %bb.1:
	s_clause 0x1
	s_load_dwordx4 s[0:3], s[4:5], 0x18
	s_load_dwordx4 s[12:15], s[4:5], 0x0
	v_mul_lo_u16 v1, 0x96, v1
	s_mov_b32 s7, 0xbfee6f0e
	v_mov_b32_e32 v143, 4
	s_mov_b32 s20, 0x9b97f4a8
	s_mov_b32 s21, 0x3fe9e377
	v_sub_nc_u16 v44, v0, v1
	v_and_b32_e32 v193, 0xffff, v44
	v_lshlrev_b32_e32 v194, 4, v193
	s_waitcnt lgkmcnt(0)
	s_load_dwordx4 s[16:19], s[0:1], 0x0
	v_add_co_u32 v19, s0, s12, v194
	v_add_co_ci_u32_e64 v20, null, s13, 0, s0
	global_load_dwordx4 v[0:3], v194, s[12:13]
	v_add_co_u32 v4, vcc_lo, 0x1000, v19
	v_add_co_ci_u32_e32 v5, vcc_lo, 0, v20, vcc_lo
	v_add_co_u32 v8, vcc_lo, 0x2000, v19
	v_add_co_ci_u32_e32 v9, vcc_lo, 0, v20, vcc_lo
	;; [unrolled: 2-line block ×3, first 2 shown]
	v_add_co_u32 v14, vcc_lo, 0x4800, v19
	s_waitcnt lgkmcnt(0)
	v_mad_u64_u32 v[6:7], null, s18, v192, 0
	v_mad_u64_u32 v[10:11], null, s16, v193, 0
	v_add_co_ci_u32_e32 v15, vcc_lo, 0, v20, vcc_lo
	v_add_co_u32 v28, vcc_lo, 0x800, v19
	v_mad_u64_u32 v[16:17], null, s19, v192, v[7:8]
	v_mad_u64_u32 v[17:18], null, s17, v193, v[11:12]
	v_add_co_ci_u32_e32 v29, vcc_lo, 0, v20, vcc_lo
	v_add_co_u32 v30, vcc_lo, 0x1800, v19
	v_mov_b32_e32 v7, v16
	v_add_co_ci_u32_e32 v31, vcc_lo, 0, v20, vcc_lo
	v_add_co_u32 v32, vcc_lo, 0x2800, v19
	v_mov_b32_e32 v11, v17
	v_lshlrev_b64 v[6:7], 4, v[6:7]
	v_add_co_ci_u32_e32 v33, vcc_lo, 0, v20, vcc_lo
	v_add_co_u32 v34, vcc_lo, 0x4000, v19
	v_add_co_ci_u32_e32 v35, vcc_lo, 0, v20, vcc_lo
	v_lshlrev_b64 v[10:11], 4, v[10:11]
	v_add_co_u32 v6, vcc_lo, s10, v6
	v_add_co_ci_u32_e32 v7, vcc_lo, s11, v7, vcc_lo
	s_mul_i32 s0, s17, 0x12c0
	v_add_co_u32 v40, vcc_lo, v6, v10
	v_add_co_ci_u32_e32 v41, vcc_lo, v7, v11, vcc_lo
	s_mul_hi_u32 s1, s16, 0x12c0
	s_mul_i32 s6, s16, 0x12c0
	s_add_i32 s1, s1, s0
	v_add_co_u32 v45, vcc_lo, v40, s6
	v_add_co_ci_u32_e32 v46, vcc_lo, s1, v41, vcc_lo
	v_add_co_u32 v77, vcc_lo, 0x5000, v19
	v_add_co_ci_u32_e32 v78, vcc_lo, 0, v20, vcc_lo
	;; [unrolled: 2-line block ×3, first 2 shown]
	s_clause 0x1
	global_load_dwordx4 v[36:39], v[4:5], off offset:704
	global_load_dwordx4 v[20:23], v[8:9], off offset:1408
	v_add_co_u32 v53, vcc_lo, v49, s6
	v_add_co_ci_u32_e32 v54, vcc_lo, s1, v50, vcc_lo
	s_clause 0x2
	global_load_dwordx4 v[24:27], v[12:13], off offset:64
	global_load_dwordx4 v[16:19], v[14:15], off offset:768
	;; [unrolled: 1-line block ×3, first 2 shown]
	v_add_co_u32 v57, vcc_lo, v53, s6
	v_add_co_ci_u32_e32 v58, vcc_lo, s1, v54, vcc_lo
	s_mul_i32 s0, s17, 0xffffbe60
	s_clause 0x1
	global_load_dwordx4 v[8:11], v[30:31], off offset:1056
	global_load_dwordx4 v[12:15], v[32:33], off offset:1760
	v_mad_u64_u32 v[28:29], null, 0xffffbe60, s16, v[57:58]
	s_sub_i32 s0, s0, s16
	s_clause 0x4
	global_load_dwordx4 v[40:43], v[40:41], off
	global_load_dwordx4 v[45:48], v[45:46], off
	;; [unrolled: 1-line block ×5, first 2 shown]
	s_mov_b32 s19, 0xbfe2cf23
	s_mov_b32 s16, 0x372fe950
	v_add_nc_u32_e32 v29, s0, v29
	v_add_co_u32 v30, vcc_lo, v28, s6
	s_mov_b32 s17, 0x3fd3c6ef
	v_add_co_ci_u32_e32 v31, vcc_lo, s1, v29, vcc_lo
	v_add_co_u32 v32, vcc_lo, v30, s6
	global_load_dwordx4 v[61:64], v[28:29], off
	v_add_co_ci_u32_e32 v33, vcc_lo, s1, v31, vcc_lo
	v_add_co_u32 v73, vcc_lo, v32, s6
	global_load_dwordx4 v[65:68], v[30:31], off
	v_add_co_ci_u32_e32 v74, vcc_lo, s1, v33, vcc_lo
	v_add_co_u32 v79, vcc_lo, v73, s6
	v_add_co_ci_u32_e32 v80, vcc_lo, s1, v74, vcc_lo
	global_load_dwordx4 v[69:72], v[32:33], off
	global_load_dwordx4 v[28:31], v[34:35], off offset:416
	global_load_dwordx4 v[73:76], v[73:74], off
	global_load_dwordx4 v[32:35], v[77:78], off offset:1120
	global_load_dwordx4 v[77:80], v[79:80], off
	s_load_dwordx4 s[8:11], s[2:3], 0x0
	s_mov_b32 s0, 0x134454ff
	s_mov_b32 s1, 0x3fee6f0e
	;; [unrolled: 1-line block ×6, first 2 shown]
	v_cmp_gt_u16_e32 vcc_lo, 50, v44
	s_waitcnt vmcnt(11)
	v_mul_f64 v[81:82], v[42:43], v[2:3]
	v_mul_f64 v[83:84], v[40:41], v[2:3]
	s_waitcnt vmcnt(10)
	v_mul_f64 v[85:86], v[47:48], v[38:39]
	v_mul_f64 v[87:88], v[45:46], v[38:39]
	;; [unrolled: 3-line block ×7, first 2 shown]
	v_fma_f64 v[81:82], v[40:41], v[0:1], v[81:82]
	v_fma_f64 v[83:84], v[42:43], v[0:1], -v[83:84]
	s_waitcnt vmcnt(4)
	v_mul_f64 v[109:110], v[71:72], v[14:15]
	v_mul_f64 v[111:112], v[69:70], v[14:15]
	s_waitcnt vmcnt(2)
	v_mul_f64 v[113:114], v[75:76], v[30:31]
	v_mul_f64 v[115:116], v[73:74], v[30:31]
	;; [unrolled: 3-line block ×3, first 2 shown]
	v_fma_f64 v[45:46], v[45:46], v[36:37], v[85:86]
	v_fma_f64 v[47:48], v[47:48], v[36:37], -v[87:88]
	v_fma_f64 v[49:50], v[49:50], v[20:21], v[89:90]
	v_fma_f64 v[51:52], v[51:52], v[20:21], -v[91:92]
	;; [unrolled: 2-line block ×5, first 2 shown]
	v_and_b32_e32 v41, 0xff, v44
	v_fma_f64 v[65:66], v[65:66], v[8:9], v[105:106]
	v_fma_f64 v[67:68], v[67:68], v[8:9], -v[107:108]
	v_mul_lo_u16 v40, 0xcd, v41
	v_fma_f64 v[69:70], v[69:70], v[12:13], v[109:110]
	v_fma_f64 v[71:72], v[71:72], v[12:13], -v[111:112]
	v_fma_f64 v[73:74], v[73:74], v[28:29], v[113:114]
	v_fma_f64 v[75:76], v[75:76], v[28:29], -v[115:116]
	;; [unrolled: 2-line block ×3, first 2 shown]
	v_lshrrev_b16 v40, 10, v40
	ds_write_b128 v194, v[81:84]
	ds_write_b128 v194, v[45:48] offset:4800
	ds_write_b128 v194, v[49:52] offset:9600
	;; [unrolled: 1-line block ×9, first 2 shown]
	s_waitcnt lgkmcnt(0)
	s_barrier
	buffer_gl0_inv
	ds_read_b128 v[45:48], v194 offset:4800
	ds_read_b128 v[49:52], v194 offset:9600
	ds_read_b128 v[53:56], v194
	ds_read_b128 v[57:60], v194 offset:14400
	ds_read_b128 v[61:64], v194 offset:19200
	;; [unrolled: 1-line block ×7, first 2 shown]
	v_mul_lo_u16 v144, v40, 5
	s_waitcnt lgkmcnt(0)
	s_barrier
	buffer_gl0_inv
	v_mul_lo_u16 v41, v41, 41
	v_add_f64 v[91:92], v[45:46], -v[49:50]
	v_add_f64 v[42:43], v[53:54], v[45:46]
	v_add_f64 v[85:86], v[49:50], v[57:58]
	;; [unrolled: 1-line block ×10, first 2 shown]
	v_add_f64 v[87:88], v[47:48], -v[63:64]
	v_add_f64 v[93:94], v[61:62], -v[57:58]
	;; [unrolled: 1-line block ×9, first 2 shown]
	v_add_f64 v[117:118], v[65:66], v[69:70]
	v_add_f64 v[133:134], v[67:68], v[71:72]
	v_add_f64 v[89:90], v[51:52], -v[59:60]
	v_add_f64 v[105:106], v[49:50], -v[57:58]
	v_fma_f64 v[85:86], v[85:86], -0.5, v[53:54]
	v_fma_f64 v[103:104], v[103:104], -0.5, v[55:56]
	;; [unrolled: 1-line block ×4, first 2 shown]
	v_add_f64 v[121:122], v[69:70], -v[73:74]
	v_add_f64 v[129:130], v[73:74], -v[69:70]
	;; [unrolled: 1-line block ×4, first 2 shown]
	v_fma_f64 v[115:116], v[115:116], -0.5, v[65:66]
	v_add_f64 v[42:43], v[42:43], v[49:50]
	v_fma_f64 v[49:50], v[119:120], -0.5, v[65:66]
	v_fma_f64 v[65:66], v[123:124], -0.5, v[67:68]
	v_add_f64 v[125:126], v[81:82], -v[77:78]
	v_add_f64 v[95:96], v[75:76], -v[79:80]
	;; [unrolled: 1-line block ×3, first 2 shown]
	v_fma_f64 v[67:68], v[127:128], -0.5, v[67:68]
	v_add_f64 v[51:52], v[97:98], v[51:52]
	v_add_f64 v[135:136], v[71:72], -v[75:76]
	v_add_f64 v[71:72], v[75:76], -v[71:72]
	;; [unrolled: 1-line block ×3, first 2 shown]
	v_add_f64 v[91:92], v[91:92], v[93:94]
	v_add_f64 v[93:94], v[99:100], v[101:102]
	;; [unrolled: 1-line block ×6, first 2 shown]
	v_fma_f64 v[109:110], v[87:88], s[0:1], v[85:86]
	v_fma_f64 v[85:86], v[87:88], s[6:7], v[85:86]
	;; [unrolled: 1-line block ×8, first 2 shown]
	v_add_f64 v[137:138], v[83:84], -v[79:80]
	v_fma_f64 v[119:120], v[139:140], s[0:1], v[115:116]
	v_fma_f64 v[115:116], v[139:140], s[6:7], v[115:116]
	;; [unrolled: 1-line block ×3, first 2 shown]
	v_add_f64 v[131:132], v[77:78], -v[81:82]
	v_add_f64 v[73:74], v[121:122], v[125:126]
	v_fma_f64 v[121:122], v[95:96], s[6:7], v[49:50]
	v_fma_f64 v[125:126], v[141:142], s[0:1], v[67:68]
	;; [unrolled: 1-line block ×5, first 2 shown]
	v_add_f64 v[42:43], v[42:43], v[57:58]
	v_add_f64 v[51:52], v[51:52], v[59:60]
	v_add_f64 v[107:108], v[71:72], v[107:108]
	v_add_f64 v[57:58], v[47:48], v[77:78]
	v_add_f64 v[59:60], v[75:76], v[79:80]
	v_fma_f64 v[71:72], v[89:90], s[2:3], v[109:110]
	v_fma_f64 v[75:76], v[89:90], s[18:19], v[85:86]
	;; [unrolled: 1-line block ×8, first 2 shown]
	v_add_f64 v[127:128], v[135:136], v[137:138]
	v_fma_f64 v[105:106], v[95:96], s[2:3], v[119:120]
	v_fma_f64 v[95:96], v[95:96], s[18:19], v[115:116]
	;; [unrolled: 1-line block ×3, first 2 shown]
	v_add_f64 v[101:102], v[129:130], v[131:132]
	v_fma_f64 v[109:110], v[139:140], s[2:3], v[121:122]
	v_fma_f64 v[117:118], v[69:70], s[18:19], v[125:126]
	;; [unrolled: 1-line block ×5, first 2 shown]
	v_add_f64 v[46:47], v[42:43], v[61:62]
	v_add_f64 v[48:49], v[51:52], v[63:64]
	;; [unrolled: 1-line block ×3, first 2 shown]
	v_add_co_u32 v45, null, 0x96, v193
	v_fma_f64 v[54:55], v[91:92], s[16:17], v[71:72]
	v_fma_f64 v[56:57], v[97:98], s[16:17], v[85:86]
	;; [unrolled: 1-line block ×5, first 2 shown]
	v_sub_nc_u16 v121, v44, v144
	v_fma_f64 v[68:69], v[99:100], s[16:17], v[103:104]
	v_add_f64 v[52:53], v[59:60], v[83:84]
	v_fma_f64 v[58:59], v[91:92], s[16:17], v[75:76]
	v_fma_f64 v[60:61], v[97:98], s[16:17], v[87:88]
	;; [unrolled: 1-line block ×10, first 2 shown]
	v_mul_u32_u24_e32 v86, 5, v45
	v_and_b32_e32 v42, 0xff, v121
	v_mul_lo_u16 v43, v44, 5
	v_lshlrev_b32_e32 v197, 4, v86
	v_mad_u64_u32 v[86:87], null, 0x90, v42, s[14:15]
	v_lshlrev_b32_sdwa v198, v143, v43 dst_sel:DWORD dst_unused:UNUSED_PAD src0_sel:DWORD src1_sel:WORD_0
	ds_write_b128 v198, v[46:49]
	ds_write_b128 v198, v[54:57] offset:16
	ds_write_b128 v198, v[62:65] offset:32
	;; [unrolled: 1-line block ×4, first 2 shown]
	ds_write_b128 v197, v[50:53]
	ds_write_b128 v197, v[70:73] offset:16
	ds_write_b128 v197, v[78:81] offset:32
	;; [unrolled: 1-line block ×4, first 2 shown]
	s_waitcnt lgkmcnt(0)
	s_barrier
	buffer_gl0_inv
	s_clause 0x8
	global_load_dwordx4 v[64:67], v[86:87], off offset:32
	global_load_dwordx4 v[56:59], v[86:87], off offset:64
	;; [unrolled: 1-line block ×7, first 2 shown]
	global_load_dwordx4 v[116:119], v[86:87], off
	global_load_dwordx4 v[84:87], v[86:87], off offset:112
	ds_read_b128 v[46:49], v194 offset:7200
	ds_read_b128 v[60:63], v194 offset:12000
	;; [unrolled: 1-line block ×9, first 2 shown]
	ds_read_b128 v[120:123], v194
	v_mov_b32_e32 v43, 50
	s_waitcnt vmcnt(0) lgkmcnt(0)
	s_barrier
	buffer_gl0_inv
	v_mul_u32_u24_sdwa v40, v40, v43 dst_sel:DWORD dst_unused:UNUSED_PAD src0_sel:WORD_0 src1_sel:DWORD
	v_add_lshl_u32 v196, v40, v42, 4
	v_mul_f64 v[50:51], v[46:47], v[66:67]
	v_mul_f64 v[124:125], v[62:63], v[58:59]
	v_mul_f64 v[126:127], v[60:61], v[58:59]
	v_mul_f64 v[128:129], v[72:73], v[54:55]
	v_mul_f64 v[132:133], v[74:75], v[54:55]
	v_mul_f64 v[130:131], v[76:77], v[70:71]
	v_mul_f64 v[134:135], v[48:49], v[66:67]
	v_mul_f64 v[136:137], v[78:79], v[70:71]
	v_mul_f64 v[148:149], v[110:111], v[118:119]
	v_mul_f64 v[150:151], v[108:109], v[118:119]
	v_mul_f64 v[138:139], v[82:83], v[114:115]
	v_mul_f64 v[142:143], v[90:91], v[106:107]
	v_mul_f64 v[144:145], v[88:89], v[106:107]
	v_mul_f64 v[146:147], v[94:95], v[98:99]
	v_mul_f64 v[140:141], v[80:81], v[114:115]
	v_fma_f64 v[48:49], v[48:49], v[64:65], v[50:51]
	v_fma_f64 v[50:51], v[60:61], v[56:57], -v[124:125]
	v_fma_f64 v[60:61], v[62:63], v[56:57], v[126:127]
	v_fma_f64 v[62:63], v[74:75], v[52:53], v[128:129]
	v_fma_f64 v[72:73], v[72:73], v[52:53], -v[132:133]
	v_fma_f64 v[74:75], v[78:79], v[68:69], v[130:131]
	v_mul_f64 v[78:79], v[102:103], v[86:87]
	v_fma_f64 v[46:47], v[46:47], v[64:65], -v[134:135]
	v_fma_f64 v[76:77], v[76:77], v[68:69], -v[136:137]
	v_mul_f64 v[124:125], v[92:93], v[98:99]
	v_fma_f64 v[108:109], v[108:109], v[116:117], -v[148:149]
	v_fma_f64 v[110:111], v[110:111], v[116:117], v[150:151]
	v_mul_f64 v[126:127], v[100:101], v[86:87]
	v_fma_f64 v[80:81], v[80:81], v[112:113], -v[138:139]
	v_fma_f64 v[88:89], v[88:89], v[104:105], -v[142:143]
	;; [unrolled: 1-line block ×3, first 2 shown]
	v_fma_f64 v[90:91], v[90:91], v[104:105], v[144:145]
	v_fma_f64 v[82:83], v[82:83], v[112:113], v[140:141]
	v_add_f64 v[162:163], v[48:49], -v[60:61]
	v_add_f64 v[128:129], v[60:61], v[62:63]
	v_add_f64 v[132:133], v[50:51], v[72:73]
	v_add_f64 v[130:131], v[48:49], v[74:75]
	v_fma_f64 v[78:79], v[100:101], v[84:85], -v[78:79]
	v_add_f64 v[136:137], v[48:49], -v[74:75]
	v_add_f64 v[100:101], v[46:47], v[76:77]
	v_fma_f64 v[94:95], v[94:95], v[96:97], v[124:125]
	v_add_f64 v[134:135], v[46:47], -v[76:77]
	v_add_f64 v[140:141], v[60:61], -v[62:63]
	v_fma_f64 v[102:103], v[102:103], v[84:85], v[126:127]
	v_add_f64 v[126:127], v[50:51], -v[72:73]
	v_add_f64 v[154:155], v[46:47], -v[50:51]
	v_add_f64 v[124:125], v[88:89], v[92:93]
	v_add_f64 v[156:157], v[76:77], -v[72:73]
	v_add_f64 v[158:159], v[50:51], -v[46:47]
	;; [unrolled: 1-line block ×3, first 2 shown]
	v_add_f64 v[46:47], v[108:109], v[46:47]
	v_add_f64 v[160:161], v[72:73], -v[76:77]
	v_add_f64 v[166:167], v[60:61], -v[48:49]
	v_add_f64 v[168:169], v[62:63], -v[74:75]
	v_add_f64 v[48:49], v[110:111], v[48:49]
	v_add_f64 v[146:147], v[120:121], v[80:81]
	v_fma_f64 v[128:129], v[128:129], -0.5, v[110:111]
	v_fma_f64 v[132:133], v[132:133], -0.5, v[108:109]
	;; [unrolled: 1-line block ×3, first 2 shown]
	v_add_f64 v[138:139], v[80:81], v[78:79]
	v_add_f64 v[150:151], v[122:123], v[82:83]
	v_fma_f64 v[100:101], v[100:101], -0.5, v[108:109]
	v_add_f64 v[142:143], v[90:91], v[94:95]
	v_add_f64 v[148:149], v[80:81], -v[88:89]
	v_add_f64 v[152:153], v[78:79], -v[92:93]
	v_add_f64 v[144:145], v[82:83], v[102:103]
	v_add_f64 v[170:171], v[88:89], -v[80:81]
	v_add_f64 v[182:183], v[82:83], -v[102:103]
	;; [unrolled: 1-line block ×3, first 2 shown]
	v_fma_f64 v[124:125], v[124:125], -0.5, v[120:121]
	v_add_f64 v[184:185], v[90:91], -v[94:95]
	v_add_f64 v[186:187], v[88:89], -v[92:93]
	;; [unrolled: 1-line block ×4, first 2 shown]
	v_add_f64 v[46:47], v[46:47], v[50:51]
	v_add_f64 v[180:181], v[102:103], -v[94:95]
	v_add_f64 v[48:49], v[48:49], v[60:61]
	v_add_f64 v[88:89], v[146:147], v[88:89]
	v_fma_f64 v[108:109], v[134:135], s[6:7], v[128:129]
	v_fma_f64 v[174:175], v[136:137], s[0:1], v[132:133]
	;; [unrolled: 1-line block ×8, first 2 shown]
	v_fma_f64 v[120:121], v[138:139], -0.5, v[120:121]
	v_fma_f64 v[138:139], v[142:143], -0.5, v[122:123]
	v_add_f64 v[142:143], v[154:155], v[156:157]
	v_add_f64 v[154:155], v[162:163], v[164:165]
	;; [unrolled: 1-line block ×3, first 2 shown]
	v_fma_f64 v[122:123], v[144:145], -0.5, v[122:123]
	v_add_f64 v[144:145], v[158:159], v[160:161]
	v_add_f64 v[90:91], v[150:151], v[90:91]
	v_fma_f64 v[50:51], v[182:183], s[0:1], v[124:125]
	v_add_f64 v[176:177], v[92:93], -v[78:79]
	v_fma_f64 v[60:61], v[182:183], s[6:7], v[124:125]
	v_add_f64 v[72:73], v[46:47], v[72:73]
	v_add_f64 v[47:48], v[48:49], v[62:63]
	;; [unrolled: 1-line block ×3, first 2 shown]
	v_fma_f64 v[108:109], v[126:127], s[18:19], v[108:109]
	v_fma_f64 v[164:165], v[140:141], s[2:3], v[174:175]
	;; [unrolled: 1-line block ×8, first 2 shown]
	v_add_f64 v[136:137], v[94:95], -v[102:103]
	v_add_f64 v[128:129], v[148:149], v[152:153]
	v_fma_f64 v[140:141], v[80:81], s[6:7], v[138:139]
	v_fma_f64 v[124:125], v[184:185], s[6:7], v[120:121]
	;; [unrolled: 1-line block ×6, first 2 shown]
	v_add_f64 v[90:91], v[90:91], v[94:95]
	v_fma_f64 v[49:50], v[184:185], s[2:3], v[50:51]
	v_add_f64 v[134:135], v[170:171], v[176:177]
	v_fma_f64 v[60:61], v[184:185], s[18:19], v[60:61]
	v_add_f64 v[72:73], v[72:73], v[76:77]
	v_add_f64 v[78:79], v[88:89], v[78:79]
	v_fma_f64 v[108:109], v[154:155], s[16:17], v[108:109]
	v_fma_f64 v[148:149], v[142:143], s[16:17], v[164:165]
	;; [unrolled: 1-line block ×8, first 2 shown]
	v_add_f64 v[142:143], v[178:179], v[180:181]
	v_add_f64 v[82:83], v[82:83], v[136:137]
	v_fma_f64 v[92:93], v[186:187], s[18:19], v[140:141]
	v_fma_f64 v[62:63], v[182:183], s[2:3], v[124:125]
	;; [unrolled: 1-line block ×6, first 2 shown]
	v_add_f64 v[88:89], v[90:91], v[102:103]
	v_add_f64 v[74:75], v[47:48], v[74:75]
	v_fma_f64 v[90:91], v[128:129], s[16:17], v[49:50]
	v_fma_f64 v[128:129], v[128:129], s[16:17], v[60:61]
	v_lshrrev_b16 v46, 11, v41
	v_add_f64 v[48:49], v[78:79], v[72:73]
	v_mul_f64 v[94:95], v[108:109], s[2:3]
	v_mul_f64 v[136:137], v[148:149], s[18:19]
	;; [unrolled: 1-line block ×8, first 2 shown]
	v_mul_lo_u16 v41, v46, 50
	v_add_f64 v[60:61], v[78:79], -v[72:73]
	v_fma_f64 v[92:93], v[142:143], s[16:17], v[92:93]
	v_fma_f64 v[102:103], v[134:135], s[16:17], v[62:63]
	;; [unrolled: 1-line block ×3, first 2 shown]
	v_sub_nc_u16 v41, v44, v41
	v_add_f64 v[50:51], v[88:89], v[74:75]
	v_add_f64 v[62:63], v[88:89], -v[74:75]
	v_and_b32_e32 v47, 0xff, v41
	v_fma_f64 v[94:95], v[148:149], s[20:21], v[94:95]
	v_fma_f64 v[108:109], v[108:109], s[20:21], v[136:137]
	;; [unrolled: 1-line block ×5, first 2 shown]
	v_fma_f64 v[130:131], v[130:131], s[0:1], -v[144:145]
	v_fma_f64 v[134:135], v[146:147], s[16:17], v[150:151]
	v_fma_f64 v[138:139], v[82:83], s[16:17], v[80:81]
	v_fma_f64 v[110:111], v[110:111], s[6:7], -v[152:153]
	v_fma_f64 v[122:123], v[126:127], s[2:3], -v[122:123]
	;; [unrolled: 1-line block ×3, first 2 shown]
	v_add_f64 v[72:73], v[90:91], v[94:95]
	v_add_f64 v[74:75], v[92:93], v[108:109]
	;; [unrolled: 1-line block ×3, first 2 shown]
	v_add_f64 v[80:81], v[90:91], -v[94:95]
	v_add_f64 v[82:83], v[92:93], -v[108:109]
	v_add_f64 v[88:89], v[120:121], v[130:131]
	v_add_f64 v[78:79], v[124:125], v[134:135]
	v_add_f64 v[92:93], v[102:103], -v[100:101]
	v_add_f64 v[90:91], v[138:139], v[110:111]
	v_add_f64 v[100:101], v[128:129], v[122:123]
	;; [unrolled: 1-line block ×3, first 2 shown]
	v_add_f64 v[94:95], v[124:125], -v[134:135]
	v_add_f64 v[108:109], v[120:121], -v[130:131]
	;; [unrolled: 1-line block ×5, first 2 shown]
	v_mad_u64_u32 v[124:125], null, 0x90, v47, s[14:15]
	ds_write_b128 v196, v[48:51]
	ds_write_b128 v196, v[60:63] offset:400
	ds_write_b128 v196, v[72:75] offset:80
	;; [unrolled: 1-line block ×9, first 2 shown]
	s_waitcnt lgkmcnt(0)
	s_barrier
	buffer_gl0_inv
	s_clause 0x8
	global_load_dwordx4 v[72:75], v[124:125], off offset:784
	global_load_dwordx4 v[60:63], v[124:125], off offset:816
	;; [unrolled: 1-line block ×9, first 2 shown]
	ds_read_b128 v[48:51], v194 offset:12000
	ds_read_b128 v[120:123], v194 offset:16800
	;; [unrolled: 1-line block ×9, first 2 shown]
	ds_read_b128 v[152:155], v194
	s_waitcnt vmcnt(0) lgkmcnt(0)
	s_barrier
	buffer_gl0_inv
	v_mul_f64 v[156:157], v[50:51], v[74:75]
	v_mul_f64 v[158:159], v[48:49], v[74:75]
	;; [unrolled: 1-line block ×16, first 2 shown]
	v_fma_f64 v[48:49], v[48:49], v[72:73], -v[156:157]
	v_fma_f64 v[50:51], v[50:51], v[72:73], v[158:159]
	v_fma_f64 v[122:123], v[122:123], v[60:61], v[160:161]
	v_fma_f64 v[120:121], v[120:121], v[60:61], -v[162:163]
	v_fma_f64 v[124:125], v[124:125], v[88:89], -v[164:165]
	v_fma_f64 v[126:127], v[126:127], v[88:89], v[166:167]
	v_fma_f64 v[130:131], v[130:131], v[40:41], v[168:169]
	v_fma_f64 v[128:129], v[128:129], v[40:41], -v[170:171]
	v_mul_f64 v[156:157], v[140:141], v[82:83]
	v_mul_f64 v[158:159], v[144:145], v[78:79]
	v_fma_f64 v[148:149], v[148:149], v[108:109], -v[184:185]
	v_fma_f64 v[150:151], v[150:151], v[108:109], v[186:187]
	v_fma_f64 v[132:133], v[132:133], v[100:101], -v[172:173]
	v_fma_f64 v[136:137], v[136:137], v[92:93], -v[176:177]
	;; [unrolled: 1-line block ×4, first 2 shown]
	v_fma_f64 v[134:135], v[134:135], v[100:101], v[174:175]
	v_fma_f64 v[138:139], v[138:139], v[92:93], v[178:179]
	v_add_f64 v[160:161], v[50:51], v[122:123]
	v_add_f64 v[162:163], v[48:49], v[120:121]
	v_add_f64 v[172:173], v[48:49], -v[120:121]
	v_add_f64 v[174:175], v[50:51], -v[122:123]
	v_add_f64 v[164:165], v[126:127], v[130:131]
	v_add_f64 v[166:167], v[124:125], v[128:129]
	v_fma_f64 v[142:143], v[142:143], v[80:81], v[156:157]
	v_fma_f64 v[146:147], v[146:147], v[76:77], v[158:159]
	v_add_f64 v[168:169], v[124:125], -v[128:129]
	v_add_f64 v[170:171], v[126:127], -v[130:131]
	;; [unrolled: 1-line block ×4, first 2 shown]
	v_add_f64 v[156:157], v[136:137], v[140:141]
	v_add_f64 v[158:159], v[132:133], v[144:145]
	v_add_f64 v[203:204], v[126:127], -v[50:51]
	v_add_f64 v[205:206], v[130:131], -v[122:123]
	;; [unrolled: 1-line block ×6, first 2 shown]
	v_add_f64 v[184:185], v[152:153], v[132:133]
	v_add_f64 v[186:187], v[154:155], v[134:135]
	v_fma_f64 v[160:161], v[160:161], -0.5, v[150:151]
	v_fma_f64 v[162:163], v[162:163], -0.5, v[148:149]
	v_add_f64 v[124:125], v[148:149], v[124:125]
	v_add_f64 v[126:127], v[150:151], v[126:127]
	v_fma_f64 v[164:165], v[164:165], -0.5, v[150:151]
	v_fma_f64 v[166:167], v[166:167], -0.5, v[148:149]
	v_add_f64 v[176:177], v[138:139], v[142:143]
	v_add_f64 v[178:179], v[134:135], v[146:147]
	v_add_f64 v[180:181], v[132:133], -v[136:137]
	v_add_f64 v[207:208], v[136:137], -v[132:133]
	;; [unrolled: 1-line block ×5, first 2 shown]
	v_fma_f64 v[150:151], v[156:157], -0.5, v[152:153]
	v_fma_f64 v[152:153], v[158:159], -0.5, v[152:153]
	v_add_f64 v[158:159], v[199:200], v[201:202]
	v_add_f64 v[182:183], v[144:145], -v[140:141]
	v_add_f64 v[227:228], v[136:137], -v[140:141]
	v_add_f64 v[201:202], v[211:212], v[213:214]
	v_add_f64 v[188:189], v[134:135], -v[138:139]
	v_add_f64 v[134:135], v[138:139], -v[134:135]
	v_add_f64 v[136:137], v[184:185], v[136:137]
	v_fma_f64 v[215:216], v[168:169], s[6:7], v[160:161]
	v_fma_f64 v[217:218], v[170:171], s[0:1], v[162:163]
	;; [unrolled: 1-line block ×8, first 2 shown]
	v_fma_f64 v[156:157], v[176:177], -0.5, v[154:155]
	v_fma_f64 v[154:155], v[178:179], -0.5, v[154:155]
	v_add_f64 v[176:177], v[203:204], v[205:206]
	v_add_f64 v[203:204], v[219:220], v[221:222]
	;; [unrolled: 1-line block ×5, first 2 shown]
	v_add_f64 v[190:191], v[146:147], -v[142:143]
	v_fma_f64 v[124:125], v[229:230], s[6:7], v[152:153]
	v_fma_f64 v[126:127], v[229:230], s[0:1], v[152:153]
	;; [unrolled: 1-line block ×3, first 2 shown]
	v_add_f64 v[209:210], v[140:141], -v[144:145]
	v_add_f64 v[213:214], v[142:143], -v[146:147]
	v_fma_f64 v[150:151], v[148:149], s[6:7], v[150:151]
	v_fma_f64 v[178:179], v[172:173], s[18:19], v[215:216]
	;; [unrolled: 1-line block ×10, first 2 shown]
	v_add_f64 v[168:169], v[180:181], v[182:183]
	v_fma_f64 v[180:181], v[227:228], s[0:1], v[154:155]
	v_fma_f64 v[154:155], v[227:228], s[6:7], v[154:155]
	;; [unrolled: 1-line block ×3, first 2 shown]
	v_add_f64 v[136:137], v[136:137], v[140:141]
	v_add_f64 v[138:139], v[138:139], v[142:143]
	;; [unrolled: 1-line block ×5, first 2 shown]
	v_fma_f64 v[120:121], v[148:149], s[2:3], v[124:125]
	v_fma_f64 v[122:123], v[148:149], s[18:19], v[126:127]
	;; [unrolled: 1-line block ×3, first 2 shown]
	v_add_f64 v[134:135], v[134:135], v[213:214]
	v_fma_f64 v[174:175], v[176:177], s[16:17], v[178:179]
	v_fma_f64 v[178:179], v[158:159], s[16:17], v[199:200]
	v_fma_f64 v[158:159], v[158:159], s[16:17], v[162:163]
	v_fma_f64 v[160:161], v[176:177], s[16:17], v[160:161]
	v_fma_f64 v[182:183], v[203:204], s[16:17], v[205:206]
	v_fma_f64 v[184:185], v[201:202], s[16:17], v[211:212]
	v_fma_f64 v[166:167], v[201:202], s[16:17], v[166:167]
	v_fma_f64 v[164:165], v[203:204], s[16:17], v[164:165]
	v_fma_f64 v[126:127], v[227:228], s[18:19], v[172:173]
	v_add_f64 v[162:163], v[207:208], v[209:210]
	v_fma_f64 v[148:149], v[132:133], s[18:19], v[180:181]
	v_fma_f64 v[132:133], v[132:133], s[2:3], v[154:155]
	;; [unrolled: 1-line block ×4, first 2 shown]
	v_add_f64 v[136:137], v[136:137], v[144:145]
	v_add_f64 v[138:139], v[138:139], v[146:147]
	v_add_f64 v[128:129], v[48:49], v[128:129]
	v_add_f64 v[130:131], v[50:51], v[130:131]
	v_fma_f64 v[146:147], v[168:169], s[16:17], v[124:125]
	v_mul_f64 v[140:141], v[174:175], s[2:3]
	v_mul_f64 v[142:143], v[178:179], s[18:19]
	v_mul_f64 v[180:181], v[158:159], s[20:21]
	v_mul_f64 v[186:187], v[160:161], s[20:21]
	v_mul_f64 v[152:153], v[182:183], s[0:1]
	v_mul_f64 v[154:155], v[184:185], s[6:7]
	v_mul_f64 v[172:173], v[166:167], s[16:17]
	v_mul_f64 v[176:177], v[164:165], s[16:17]
	v_fma_f64 v[188:189], v[170:171], s[16:17], v[126:127]
	v_fma_f64 v[144:145], v[162:163], s[16:17], v[120:121]
	;; [unrolled: 1-line block ×6, first 2 shown]
	v_add_f64 v[48:49], v[136:137], v[128:129]
	v_add_f64 v[50:51], v[138:139], v[130:131]
	v_add_f64 v[120:121], v[136:137], -v[128:129]
	v_add_f64 v[122:123], v[138:139], -v[130:131]
	v_fma_f64 v[140:141], v[178:179], s[20:21], v[140:141]
	v_fma_f64 v[142:143], v[174:175], s[20:21], v[142:143]
	;; [unrolled: 1-line block ×3, first 2 shown]
	v_fma_f64 v[160:161], v[160:161], s[2:3], -v[180:181]
	v_fma_f64 v[152:153], v[184:185], s[16:17], v[152:153]
	v_fma_f64 v[154:155], v[182:183], s[16:17], v[154:155]
	v_fma_f64 v[150:151], v[164:165], s[0:1], -v[172:173]
	v_fma_f64 v[164:165], v[166:167], s[6:7], -v[176:177]
	v_fma_f64 v[158:159], v[158:159], s[18:19], -v[186:187]
	v_mov_b32_e32 v166, 0x1f4
	s_load_dwordx2 s[2:3], s[4:5], 0x38
                                        ; implicit-def: $vgpr184_vgpr185
	v_mul_u32_u24_sdwa v46, v46, v166 dst_sel:DWORD dst_unused:UNUSED_PAD src0_sel:WORD_0 src1_sel:DWORD
	v_add_lshl_u32 v195, v46, v47, 4
	v_add_f64 v[124:125], v[146:147], v[140:141]
	v_add_f64 v[126:127], v[188:189], v[142:143]
	v_add_f64 v[128:129], v[146:147], -v[140:141]
	v_add_f64 v[130:131], v[188:189], -v[142:143]
	v_add_f64 v[132:133], v[144:145], v[152:153]
	v_add_f64 v[134:135], v[148:149], v[154:155]
	;; [unrolled: 1-line block ×4, first 2 shown]
	v_add_f64 v[136:137], v[144:145], -v[152:153]
	v_add_f64 v[144:145], v[168:169], v[160:161]
	v_add_f64 v[146:147], v[156:157], v[158:159]
	v_add_f64 v[138:139], v[148:149], -v[154:155]
	v_add_f64 v[148:149], v[162:163], -v[150:151]
	;; [unrolled: 1-line block ×5, first 2 shown]
	ds_write_b128 v195, v[48:51]
	ds_write_b128 v195, v[120:123] offset:4000
	ds_write_b128 v195, v[124:127] offset:800
	;; [unrolled: 1-line block ×9, first 2 shown]
	s_waitcnt lgkmcnt(0)
	s_barrier
	buffer_gl0_inv
	ds_read_b128 v[156:159], v194
	ds_read_b128 v[144:147], v194 offset:2400
	ds_read_b128 v[172:175], v194 offset:16000
	;; [unrolled: 1-line block ×8, first 2 shown]
                                        ; implicit-def: $vgpr188_vgpr189
	s_and_saveexec_b32 s0, vcc_lo
	s_cbranch_execz .LBB0_3
; %bb.2:
	ds_read_b128 v[152:155], v194 offset:7200
	ds_read_b128 v[184:187], v194 offset:15200
	;; [unrolled: 1-line block ×3, first 2 shown]
.LBB0_3:
	s_or_b32 exec_lo, exec_lo, s0
	v_lshlrev_b32_e32 v136, 5, v193
	v_lshlrev_b32_e32 v44, 5, v45
	s_mov_b32 s5, 0xbfebb67a
	v_add_co_u32 v46, s0, s14, v136
	v_add_co_ci_u32_e64 v47, null, s15, 0, s0
	v_add_co_u32 v50, s1, s14, v44
	v_add_co_u32 v44, s0, 0x1ef0, v46
	v_add_co_ci_u32_e64 v45, s0, 0, v47, s0
	v_add_co_ci_u32_e64 v51, null, s15, 0, s1
	v_add_co_u32 v46, s0, 0x1800, v46
	v_add_co_ci_u32_e64 v47, s0, 0, v47, s0
	v_add_co_u32 v48, s0, 0x1ef0, v50
	v_add_co_ci_u32_e64 v49, s0, 0, v51, s0
	;; [unrolled: 2-line block ×3, first 2 shown]
	v_add_co_u32 v137, s0, 0x1c2, v193
	v_add_co_ci_u32_e64 v138, null, 0, 0, s0
	s_clause 0x3
	global_load_dwordx4 v[120:123], v[46:47], off offset:1776
	global_load_dwordx4 v[124:127], v[44:45], off offset:16
	global_load_dwordx4 v[128:131], v[50:51], off offset:1776
	global_load_dwordx4 v[132:135], v[48:49], off offset:16
	v_add_co_u32 v46, s0, 0xffffffce, v193
	v_add_nc_u32_e32 v44, 0x2580, v136
	v_add_co_ci_u32_e64 v45, null, 0, -1, s0
	v_add_co_u32 v48, s0, s14, v44
	v_cndmask_b32_e32 v45, v45, v138, vcc_lo
	v_cndmask_b32_e32 v44, v46, v137, vcc_lo
	v_add_co_ci_u32_e64 v49, null, s15, 0, s0
	v_add_co_u32 v46, s0, 0x1ef0, v48
	v_lshlrev_b64 v[44:45], 5, v[44:45]
	v_add_co_ci_u32_e64 v47, s0, 0, v49, s0
	v_add_co_u32 v48, s0, 0x1800, v48
	v_add_co_ci_u32_e64 v49, s0, 0, v49, s0
	v_add_co_u32 v50, s0, s14, v44
	v_add_co_ci_u32_e64 v51, s0, s15, v45, s0
	global_load_dwordx4 v[136:139], v[48:49], off offset:1776
	v_add_co_u32 v44, s0, 0x1800, v50
	v_add_co_ci_u32_e64 v45, s0, 0, v51, s0
	v_add_co_u32 v48, s0, 0x1ef0, v50
	v_add_co_ci_u32_e64 v49, s0, 0, v51, s0
	s_clause 0x2
	global_load_dwordx4 v[140:143], v[46:47], off offset:16
	global_load_dwordx4 v[44:47], v[44:45], off offset:1776
	;; [unrolled: 1-line block ×3, first 2 shown]
	s_mov_b32 s0, 0xe8584caa
	s_mov_b32 s1, 0x3febb67a
	;; [unrolled: 1-line block ×3, first 2 shown]
	s_waitcnt vmcnt(7) lgkmcnt(4)
	v_mul_f64 v[199:200], v[182:183], v[122:123]
	v_mul_f64 v[201:202], v[180:181], v[122:123]
	s_waitcnt vmcnt(6)
	v_mul_f64 v[203:204], v[174:175], v[126:127]
	v_mul_f64 v[205:206], v[172:173], v[126:127]
	s_waitcnt vmcnt(5) lgkmcnt(2)
	v_mul_f64 v[207:208], v[178:179], v[130:131]
	v_mul_f64 v[209:210], v[176:177], v[130:131]
	s_waitcnt vmcnt(4)
	v_mul_f64 v[211:212], v[162:163], v[134:135]
	v_mul_f64 v[213:214], v[160:161], v[134:135]
	v_fma_f64 v[180:181], v[180:181], v[120:121], -v[199:200]
	v_fma_f64 v[182:183], v[182:183], v[120:121], v[201:202]
	v_fma_f64 v[172:173], v[172:173], v[124:125], -v[203:204]
	v_fma_f64 v[174:175], v[174:175], v[124:125], v[205:206]
	;; [unrolled: 2-line block ×4, first 2 shown]
	s_waitcnt vmcnt(3) lgkmcnt(1)
	v_mul_f64 v[215:216], v[170:171], v[138:139]
	v_mul_f64 v[217:218], v[168:169], v[138:139]
	s_waitcnt vmcnt(2) lgkmcnt(0)
	v_mul_f64 v[219:220], v[166:167], v[142:143]
	v_mul_f64 v[221:222], v[164:165], v[142:143]
	s_waitcnt vmcnt(1)
	v_mul_f64 v[223:224], v[186:187], v[46:47]
	s_waitcnt vmcnt(0)
	v_mul_f64 v[225:226], v[190:191], v[50:51]
	v_mul_f64 v[227:228], v[184:185], v[46:47]
	;; [unrolled: 1-line block ×3, first 2 shown]
	v_add_f64 v[231:232], v[176:177], -v[199:200]
	v_fma_f64 v[168:169], v[168:169], v[136:137], -v[215:216]
	v_fma_f64 v[170:171], v[170:171], v[136:137], v[217:218]
	v_add_f64 v[215:216], v[156:157], v[180:181]
	v_add_f64 v[217:218], v[182:183], -v[174:175]
	v_fma_f64 v[203:204], v[164:165], v[140:141], -v[219:220]
	v_fma_f64 v[205:206], v[166:167], v[140:141], v[221:222]
	v_fma_f64 v[162:163], v[184:185], v[44:45], -v[223:224]
	v_fma_f64 v[160:161], v[188:189], v[48:49], -v[225:226]
	v_fma_f64 v[166:167], v[186:187], v[44:45], v[227:228]
	v_fma_f64 v[164:165], v[190:191], v[48:49], v[229:230]
	v_add_f64 v[184:185], v[180:181], v[172:173]
	v_add_f64 v[186:187], v[182:183], v[174:175]
	;; [unrolled: 1-line block ×7, first 2 shown]
	v_add_f64 v[227:228], v[180:181], -v[172:173]
	v_add_f64 v[223:224], v[148:149], v[168:169]
	v_add_f64 v[225:226], v[150:151], v[170:171]
	v_add_f64 v[229:230], v[178:179], -v[201:202]
	v_add_f64 v[207:208], v[168:169], v[203:204]
	v_add_f64 v[209:210], v[170:171], v[205:206]
	v_add_f64 v[233:234], v[170:171], -v[205:206]
	v_add_f64 v[211:212], v[162:163], v[160:161]
	v_add_f64 v[235:236], v[162:163], -v[160:161]
	v_add_f64 v[213:214], v[166:167], v[164:165]
	v_fma_f64 v[184:185], v[184:185], -0.5, v[156:157]
	v_fma_f64 v[186:187], v[186:187], -0.5, v[158:159]
	;; [unrolled: 1-line block ×4, first 2 shown]
	v_add_f64 v[156:157], v[215:216], v[172:173]
	v_add_f64 v[158:159], v[182:183], v[174:175]
	;; [unrolled: 1-line block ×5, first 2 shown]
	v_fma_f64 v[148:149], v[207:208], -0.5, v[148:149]
	v_add_f64 v[207:208], v[168:169], -v[203:204]
	v_fma_f64 v[150:151], v[209:210], -0.5, v[150:151]
	v_add_f64 v[209:210], v[166:167], -v[164:165]
	v_fma_f64 v[211:212], v[211:212], -0.5, v[152:153]
	v_fma_f64 v[213:214], v[213:214], -0.5, v[154:155]
	v_add_f64 v[168:169], v[219:220], v[199:200]
	v_fma_f64 v[176:177], v[217:218], s[0:1], v[184:185]
	v_fma_f64 v[180:181], v[217:218], s[4:5], v[184:185]
	;; [unrolled: 1-line block ×16, first 2 shown]
	ds_write_b128 v194, v[156:159]
	ds_write_b128 v194, v[176:179] offset:8000
	ds_write_b128 v194, v[180:183] offset:16000
	;; [unrolled: 1-line block ×8, first 2 shown]
	s_and_saveexec_b32 s0, vcc_lo
	s_cbranch_execz .LBB0_5
; %bb.4:
	v_add_f64 v[154:155], v[154:155], v[166:167]
	v_add_f64 v[152:153], v[152:153], v[162:163]
	;; [unrolled: 1-line block ×4, first 2 shown]
	ds_write_b128 v194, v[144:147] offset:15200
	ds_write_b128 v194, v[152:155] offset:7200
	;; [unrolled: 1-line block ×3, first 2 shown]
.LBB0_5:
	s_or_b32 exec_lo, exec_lo, s0
	v_lshlrev_b32_e32 v152, 4, v193
	s_waitcnt lgkmcnt(0)
	s_barrier
	buffer_gl0_inv
	s_mov_b32 s14, 0x134454ff
	v_add_co_u32 v209, s0, s12, v152
	v_add_co_ci_u32_e64 v210, null, s13, 0, s0
	s_mov_b32 s15, 0xbfee6f0e
	v_add_co_u32 v152, s0, 0x5800, v209
	v_add_co_ci_u32_e64 v153, s0, 0, v210, s0
	v_add_co_u32 v156, s0, 0x7000, v209
	v_add_co_ci_u32_e64 v157, s0, 0, v210, s0
	s_mov_b32 s5, 0x3fee6f0e
	s_clause 0x1
	global_load_dwordx4 v[152:155], v[152:153], off offset:1472
	global_load_dwordx4 v[156:159], v[156:157], off offset:128
	ds_read_b128 v[160:163], v194
	ds_read_b128 v[164:167], v194 offset:2400
	s_mov_b32 s4, s14
	s_mov_b32 s12, 0x4755a5e
	;; [unrolled: 1-line block ×12, first 2 shown]
	s_waitcnt vmcnt(1) lgkmcnt(1)
	v_mul_f64 v[168:169], v[162:163], v[154:155]
	v_mul_f64 v[154:155], v[160:161], v[154:155]
	v_fma_f64 v[160:161], v[160:161], v[152:153], -v[168:169]
	v_fma_f64 v[162:163], v[162:163], v[152:153], v[154:155]
	ds_read_b128 v[152:155], v194 offset:4800
	ds_read_b128 v[168:171], v194 offset:7200
	s_waitcnt vmcnt(0) lgkmcnt(1)
	v_mul_f64 v[172:173], v[154:155], v[158:159]
	v_mul_f64 v[158:159], v[152:153], v[158:159]
	v_fma_f64 v[152:153], v[152:153], v[156:157], -v[172:173]
	v_fma_f64 v[154:155], v[154:155], v[156:157], v[158:159]
	v_add_co_u32 v156, s0, 0x8000, v209
	v_add_co_ci_u32_e64 v157, s0, 0, v210, s0
	v_add_co_u32 v172, s0, 0x9000, v209
	v_add_co_ci_u32_e64 v173, s0, 0, v210, s0
	s_clause 0x1
	global_load_dwordx4 v[156:159], v[156:157], off offset:832
	global_load_dwordx4 v[172:175], v[172:173], off offset:1536
	ds_read_b128 v[176:179], v194 offset:9600
	ds_read_b128 v[180:183], v194 offset:12000
	s_waitcnt vmcnt(1) lgkmcnt(1)
	v_mul_f64 v[184:185], v[178:179], v[158:159]
	v_mul_f64 v[158:159], v[176:177], v[158:159]
	v_fma_f64 v[176:177], v[176:177], v[156:157], -v[184:185]
	v_fma_f64 v[178:179], v[178:179], v[156:157], v[158:159]
	ds_read_b128 v[156:159], v194 offset:14400
	ds_read_b128 v[184:187], v194 offset:16800
	s_waitcnt vmcnt(0) lgkmcnt(1)
	v_mul_f64 v[188:189], v[158:159], v[174:175]
	v_mul_f64 v[174:175], v[156:157], v[174:175]
	v_fma_f64 v[156:157], v[156:157], v[172:173], -v[188:189]
	v_fma_f64 v[158:159], v[158:159], v[172:173], v[174:175]
	v_add_co_u32 v172, s0, 0xa800, v209
	v_add_co_ci_u32_e64 v173, s0, 0, v210, s0
	v_add_co_u32 v188, s0, 0x6000, v209
	v_add_co_ci_u32_e64 v189, s0, 0, v210, s0
	s_clause 0x1
	global_load_dwordx4 v[172:175], v[172:173], off offset:192
	global_load_dwordx4 v[188:191], v[188:189], off offset:1824
	ds_read_b128 v[199:202], v194 offset:19200
	ds_read_b128 v[203:206], v194 offset:21600
	s_waitcnt vmcnt(1) lgkmcnt(1)
	v_mul_f64 v[207:208], v[201:202], v[174:175]
	v_mul_f64 v[174:175], v[199:200], v[174:175]
	v_fma_f64 v[199:200], v[199:200], v[172:173], -v[207:208]
	v_fma_f64 v[201:202], v[201:202], v[172:173], v[174:175]
	s_waitcnt vmcnt(0)
	v_mul_f64 v[172:173], v[166:167], v[190:191]
	v_mul_f64 v[174:175], v[164:165], v[190:191]
	v_fma_f64 v[164:165], v[164:165], v[188:189], -v[172:173]
	v_add_co_u32 v172, s0, 0x7800, v209
	v_add_co_ci_u32_e64 v173, s0, 0, v210, s0
	v_fma_f64 v[166:167], v[166:167], v[188:189], v[174:175]
	v_add_co_u32 v188, s0, 0x8800, v209
	v_add_co_ci_u32_e64 v189, s0, 0, v210, s0
	s_clause 0x1
	global_load_dwordx4 v[172:175], v[172:173], off offset:480
	global_load_dwordx4 v[188:191], v[188:189], off offset:1184
	s_waitcnt vmcnt(1)
	v_mul_f64 v[207:208], v[170:171], v[174:175]
	v_mul_f64 v[174:175], v[168:169], v[174:175]
	v_fma_f64 v[168:169], v[168:169], v[172:173], -v[207:208]
	v_fma_f64 v[170:171], v[170:171], v[172:173], v[174:175]
	s_waitcnt vmcnt(0)
	v_mul_f64 v[172:173], v[182:183], v[190:191]
	v_mul_f64 v[174:175], v[180:181], v[190:191]
	v_fma_f64 v[172:173], v[180:181], v[188:189], -v[172:173]
	v_add_co_u32 v180, s0, 0x9800, v209
	v_add_co_ci_u32_e64 v181, s0, 0, v210, s0
	v_fma_f64 v[174:175], v[182:183], v[188:189], v[174:175]
	v_add_co_u32 v188, s0, 0xb000, v209
	v_add_co_ci_u32_e64 v189, s0, 0, v210, s0
	s_clause 0x1
	global_load_dwordx4 v[180:183], v[180:181], off offset:1888
	global_load_dwordx4 v[188:191], v[188:189], off offset:544
	s_mov_b32 s0, s12
	s_waitcnt vmcnt(1)
	v_mul_f64 v[207:208], v[186:187], v[182:183]
	v_mul_f64 v[209:210], v[184:185], v[182:183]
	v_fma_f64 v[182:183], v[184:185], v[180:181], -v[207:208]
	v_fma_f64 v[184:185], v[186:187], v[180:181], v[209:210]
	s_waitcnt vmcnt(0) lgkmcnt(0)
	v_mul_f64 v[180:181], v[205:206], v[190:191]
	v_mul_f64 v[190:191], v[203:204], v[190:191]
	v_fma_f64 v[186:187], v[203:204], v[188:189], -v[180:181]
	v_fma_f64 v[188:189], v[205:206], v[188:189], v[190:191]
	ds_write_b128 v194, v[160:163]
	ds_write_b128 v194, v[152:155] offset:4800
	ds_write_b128 v194, v[176:179] offset:9600
	;; [unrolled: 1-line block ×9, first 2 shown]
	s_waitcnt lgkmcnt(0)
	s_barrier
	buffer_gl0_inv
	ds_read_b128 v[152:155], v194 offset:4800
	ds_read_b128 v[156:159], v194
	ds_read_b128 v[160:163], v194 offset:2400
	ds_read_b128 v[164:167], v194 offset:7200
	;; [unrolled: 1-line block ×4, first 2 shown]
	s_waitcnt lgkmcnt(4)
	v_add_f64 v[176:177], v[156:157], v[152:153]
	s_waitcnt lgkmcnt(1)
	v_add_f64 v[203:204], v[152:153], -v[168:169]
	v_add_f64 v[205:206], v[168:169], -v[152:153]
	;; [unrolled: 1-line block ×4, first 2 shown]
	s_waitcnt lgkmcnt(0)
	v_add_f64 v[227:228], v[164:165], -v[172:173]
	v_add_f64 v[229:230], v[172:173], -v[164:165]
	;; [unrolled: 1-line block ×4, first 2 shown]
	v_add_f64 v[188:189], v[176:177], v[168:169]
	v_add_f64 v[176:177], v[158:159], v[154:155]
	;; [unrolled: 1-line block ×3, first 2 shown]
	ds_read_b128 v[176:179], v194 offset:14400
	ds_read_b128 v[180:183], v194 offset:16800
	s_waitcnt lgkmcnt(1)
	v_add_f64 v[199:200], v[168:169], v[176:177]
	v_add_f64 v[201:202], v[170:171], -v[178:179]
	v_add_f64 v[207:208], v[170:171], v[178:179]
	v_add_f64 v[209:210], v[168:169], -v[176:177]
	ds_read_b128 v[168:171], v194 offset:19200
	ds_read_b128 v[184:187], v194 offset:21600
	s_waitcnt lgkmcnt(2)
	v_add_f64 v[223:224], v[172:173], v[180:181]
	v_add_f64 v[225:226], v[174:175], -v[182:183]
	v_add_f64 v[231:232], v[174:175], v[182:183]
	v_add_f64 v[233:234], v[172:173], -v[180:181]
	s_waitcnt lgkmcnt(0)
	s_barrier
	buffer_gl0_inv
	v_add_f64 v[215:216], v[154:155], -v[170:171]
	v_add_f64 v[217:218], v[152:153], v[168:169]
	v_add_f64 v[219:220], v[152:153], -v[168:169]
	v_add_f64 v[221:222], v[154:155], v[170:171]
	v_add_f64 v[152:153], v[188:189], v[176:177]
	;; [unrolled: 1-line block ×3, first 2 shown]
	v_add_f64 v[188:189], v[168:169], -v[176:177]
	v_add_f64 v[176:177], v[176:177], -v[168:169]
	;; [unrolled: 1-line block ×5, first 2 shown]
	v_add_f64 v[241:242], v[164:165], v[184:185]
	v_add_f64 v[243:244], v[164:165], -v[184:185]
	v_add_f64 v[245:246], v[166:167], v[186:187]
	v_add_f64 v[247:248], v[184:185], -v[180:181]
	v_add_f64 v[249:250], v[186:187], -v[182:183]
	v_add_f64 v[152:153], v[152:153], v[168:169]
	v_add_f64 v[154:155], v[154:155], v[170:171]
	v_add_f64 v[168:169], v[160:161], v[164:165]
	v_add_f64 v[170:171], v[162:163], v[166:167]
	v_add_f64 v[176:177], v[205:206], v[176:177]
	v_add_f64 v[178:179], v[213:214], v[178:179]
	v_add_f64 v[168:169], v[168:169], v[172:173]
	v_add_f64 v[170:171], v[170:171], v[174:175]
	v_fma_f64 v[172:173], v[199:200], -0.5, v[156:157]
	v_fma_f64 v[174:175], v[207:208], -0.5, v[158:159]
	v_add_f64 v[164:165], v[168:169], v[180:181]
	v_add_f64 v[166:167], v[170:171], v[182:183]
	v_fma_f64 v[168:169], v[217:218], -0.5, v[156:157]
	v_fma_f64 v[170:171], v[221:222], -0.5, v[158:159]
	v_add_f64 v[180:181], v[180:181], -v[184:185]
	v_add_f64 v[182:183], v[182:183], -v[186:187]
	v_add_f64 v[164:165], v[164:165], v[184:185]
	v_add_f64 v[166:167], v[166:167], v[186:187]
	v_fma_f64 v[156:157], v[201:202], s[4:5], v[168:169]
	v_fma_f64 v[158:159], v[209:210], s[14:15], v[170:171]
	;; [unrolled: 1-line block ×4, first 2 shown]
	v_add_f64 v[184:185], v[203:204], v[188:189]
	v_add_f64 v[186:187], v[211:212], v[190:191]
	v_fma_f64 v[156:157], v[215:216], s[12:13], v[156:157]
	v_fma_f64 v[158:159], v[219:220], s[0:1], v[158:159]
	;; [unrolled: 1-line block ×20, first 2 shown]
	ds_write_b128 v198, v[152:155]
	ds_write_b128 v198, v[172:175] offset:16
	ds_write_b128 v198, v[156:159] offset:32
	;; [unrolled: 1-line block ×4, first 2 shown]
	v_fma_f64 v[156:157], v[241:242], -0.5, v[160:161]
	v_fma_f64 v[158:159], v[245:246], -0.5, v[162:163]
	;; [unrolled: 1-line block ×4, first 2 shown]
	v_add_f64 v[162:163], v[229:230], v[180:181]
	v_add_f64 v[170:171], v[237:238], v[182:183]
	;; [unrolled: 1-line block ×4, first 2 shown]
	v_fma_f64 v[152:153], v[225:226], s[4:5], v[156:157]
	v_fma_f64 v[154:155], v[233:234], s[14:15], v[158:159]
	;; [unrolled: 1-line block ×24, first 2 shown]
	ds_write_b128 v197, v[164:167]
	ds_write_b128 v197, v[160:163] offset:16
	ds_write_b128 v197, v[152:155] offset:32
	;; [unrolled: 1-line block ×4, first 2 shown]
	s_waitcnt lgkmcnt(0)
	s_barrier
	buffer_gl0_inv
	ds_read_b128 v[154:157], v194 offset:2400
	ds_read_b128 v[160:163], v194
	s_waitcnt lgkmcnt(1)
	v_mul_f64 v[152:153], v[118:119], v[156:157]
	v_mul_f64 v[118:119], v[118:119], v[154:155]
	v_fma_f64 v[152:153], v[116:117], v[154:155], v[152:153]
	v_fma_f64 v[116:117], v[116:117], v[156:157], -v[118:119]
	ds_read_b128 v[154:157], v194 offset:4800
	ds_read_b128 v[164:167], v194 offset:7200
	s_waitcnt lgkmcnt(1)
	v_mul_f64 v[118:119], v[114:115], v[156:157]
	v_mul_f64 v[114:115], v[114:115], v[154:155]
	v_fma_f64 v[118:119], v[112:113], v[154:155], v[118:119]
	v_fma_f64 v[114:115], v[112:113], v[156:157], -v[114:115]
	s_waitcnt lgkmcnt(0)
	v_mul_f64 v[112:113], v[66:67], v[166:167]
	v_mul_f64 v[66:67], v[66:67], v[164:165]
	v_fma_f64 v[112:113], v[64:65], v[164:165], v[112:113]
	v_fma_f64 v[64:65], v[64:65], v[166:167], -v[66:67]
	ds_read_b128 v[154:157], v194 offset:9600
	ds_read_b128 v[164:167], v194 offset:12000
	s_waitcnt lgkmcnt(1)
	v_mul_f64 v[66:67], v[106:107], v[156:157]
	v_mul_f64 v[106:107], v[106:107], v[154:155]
	v_fma_f64 v[66:67], v[104:105], v[154:155], v[66:67]
	v_fma_f64 v[104:105], v[104:105], v[156:157], -v[106:107]
	s_waitcnt lgkmcnt(0)
	v_mul_f64 v[106:107], v[58:59], v[166:167]
	v_mul_f64 v[58:59], v[58:59], v[164:165]
	v_fma_f64 v[106:107], v[56:57], v[164:165], v[106:107]
	v_fma_f64 v[56:57], v[56:57], v[166:167], -v[58:59]
	ds_read_b128 v[156:159], v194 offset:14400
	ds_read_b128 v[164:167], v194 offset:16800
	s_waitcnt lgkmcnt(1)
	v_mul_f64 v[58:59], v[98:99], v[158:159]
	v_fma_f64 v[154:155], v[96:97], v[156:157], v[58:59]
	v_mul_f64 v[58:59], v[98:99], v[156:157]
	v_add_f64 v[207:208], v[66:67], -v[154:155]
	v_fma_f64 v[156:157], v[96:97], v[158:159], -v[58:59]
	s_waitcnt lgkmcnt(0)
	v_mul_f64 v[58:59], v[54:55], v[166:167]
	v_mul_f64 v[54:55], v[54:55], v[164:165]
	v_add_f64 v[203:204], v[104:105], -v[156:157]
	v_fma_f64 v[98:99], v[52:53], v[164:165], v[58:59]
	v_fma_f64 v[96:97], v[52:53], v[166:167], -v[54:55]
	ds_read_b128 v[52:55], v194 offset:19200
	ds_read_b128 v[164:167], v194 offset:21600
	s_waitcnt lgkmcnt(0)
	s_barrier
	buffer_gl0_inv
	v_mul_f64 v[58:59], v[86:87], v[54:55]
	v_add_f64 v[190:191], v[106:107], -v[98:99]
	v_add_f64 v[199:200], v[56:57], -v[96:97]
	v_fma_f64 v[158:159], v[84:85], v[52:53], v[58:59]
	v_mul_f64 v[52:53], v[86:87], v[52:53]
	v_add_f64 v[205:206], v[118:119], -v[158:159]
	v_fma_f64 v[86:87], v[84:85], v[54:55], -v[52:53]
	v_mul_f64 v[52:53], v[70:71], v[166:167]
	v_add_f64 v[54:55], v[118:119], v[158:159]
	v_add_f64 v[201:202], v[114:115], -v[86:87]
	v_fma_f64 v[84:85], v[68:69], v[164:165], v[52:53]
	v_mul_f64 v[52:53], v[70:71], v[164:165]
	v_fma_f64 v[58:59], v[54:55], -0.5, v[160:161]
	v_add_f64 v[54:55], v[104:105], v[156:157]
	v_add_f64 v[70:71], v[114:115], v[86:87]
	;; [unrolled: 1-line block ×3, first 2 shown]
	v_add_f64 v[188:189], v[112:113], -v[84:85]
	v_fma_f64 v[68:69], v[68:69], v[166:167], -v[52:53]
	v_add_f64 v[52:53], v[66:67], v[154:155]
	v_fma_f64 v[54:55], v[54:55], -0.5, v[162:163]
	v_fma_f64 v[70:71], v[70:71], -0.5, v[162:163]
	v_add_f64 v[162:163], v[162:163], v[114:115]
	v_add_f64 v[166:167], v[116:117], v[64:65]
	v_add_f64 v[164:165], v[164:165], v[106:107]
	v_add_f64 v[197:198], v[64:65], -v[68:69]
	v_fma_f64 v[52:53], v[52:53], -0.5, v[160:161]
	v_add_f64 v[160:161], v[160:161], v[118:119]
	v_add_f64 v[162:163], v[162:163], v[104:105]
	;; [unrolled: 1-line block ×13, first 2 shown]
	v_add_f64 v[166:167], v[170:171], -v[166:167]
	v_add_f64 v[170:171], v[158:159], -v[154:155]
	v_add_f64 v[160:161], v[168:169], v[164:165]
	v_add_f64 v[164:165], v[168:169], -v[164:165]
	v_add_f64 v[168:169], v[118:119], -v[66:67]
	v_add_f64 v[66:67], v[66:67], -v[118:119]
	v_add_f64 v[118:119], v[154:155], -v[158:159]
	v_add_f64 v[176:177], v[168:169], v[170:171]
	v_add_f64 v[168:169], v[114:115], -v[104:105]
	v_add_f64 v[170:171], v[86:87], -v[156:157]
	;; [unrolled: 5-line block ×3, first 2 shown]
	v_add_f64 v[104:105], v[104:105], v[86:87]
	v_add_f64 v[180:181], v[168:169], v[170:171]
	v_add_f64 v[168:169], v[64:65], -v[56:57]
	v_add_f64 v[170:171], v[68:69], -v[96:97]
	v_add_f64 v[182:183], v[168:169], v[170:171]
	v_add_f64 v[168:169], v[106:107], v[98:99]
	v_add_f64 v[106:107], v[106:107], -v[112:113]
	v_add_f64 v[112:113], v[112:113], v[84:85]
	v_add_f64 v[84:85], v[98:99], -v[84:85]
	v_add_f64 v[98:99], v[66:67], v[118:119]
	v_fma_f64 v[184:185], v[168:169], -0.5, v[152:153]
	v_add_f64 v[168:169], v[56:57], v[96:97]
	v_add_f64 v[56:57], v[56:57], -v[64:65]
	v_add_f64 v[64:65], v[64:65], v[68:69]
	v_add_f64 v[68:69], v[96:97], -v[68:69]
	v_fma_f64 v[112:113], v[112:113], -0.5, v[152:153]
	v_add_f64 v[106:107], v[106:107], v[84:85]
	v_fma_f64 v[170:171], v[197:198], s[14:15], v[184:185]
	v_fma_f64 v[186:187], v[168:169], -0.5, v[116:117]
	v_fma_f64 v[96:97], v[64:65], -0.5, v[116:117]
	v_add_f64 v[56:57], v[56:57], v[68:69]
	v_fma_f64 v[66:67], v[199:200], s[4:5], v[112:113]
	v_fma_f64 v[170:171], v[199:200], s[12:13], v[170:171]
	;; [unrolled: 1-line block ×11, first 2 shown]
	v_mul_f64 v[172:173], v[168:169], s[12:13]
	v_mul_f64 v[168:169], v[168:169], s[16:17]
	;; [unrolled: 1-line block ×4, first 2 shown]
	v_fma_f64 v[172:173], v[170:171], s[16:17], v[172:173]
	v_fma_f64 v[174:175], v[170:171], s[0:1], v[168:169]
	;; [unrolled: 1-line block ×22, first 2 shown]
	v_add_f64 v[64:65], v[84:85], v[68:69]
	v_add_f64 v[84:85], v[84:85], -v[68:69]
	v_fma_f64 v[68:69], v[98:99], s[6:7], v[58:59]
	v_fma_f64 v[58:59], v[207:208], s[4:5], v[70:71]
	v_add_f64 v[168:169], v[209:210], v[172:173]
	v_add_f64 v[170:171], v[211:212], v[174:175]
	;; [unrolled: 1-line block ×3, first 2 shown]
	v_add_f64 v[172:173], v[209:210], -v[172:173]
	v_add_f64 v[174:175], v[211:212], -v[174:175]
	;; [unrolled: 1-line block ×3, first 2 shown]
	v_fma_f64 v[58:59], v[205:206], s[12:13], v[58:59]
	v_fma_f64 v[70:71], v[104:105], s[6:7], v[58:59]
	;; [unrolled: 1-line block ×7, first 2 shown]
	v_mul_f64 v[96:97], v[56:57], s[14:15]
	v_fma_f64 v[58:59], v[197:198], s[0:1], v[58:59]
	v_mul_f64 v[56:57], v[56:57], s[18:19]
	v_fma_f64 v[58:59], v[106:107], s[6:7], v[58:59]
	v_fma_f64 v[106:107], v[178:179], s[6:7], v[54:55]
	;; [unrolled: 1-line block ×4, first 2 shown]
	v_add_f64 v[56:57], v[68:69], v[96:97]
	v_add_f64 v[68:69], v[68:69], -v[96:97]
	v_fma_f64 v[96:97], v[188:189], s[14:15], v[186:187]
	v_add_f64 v[58:59], v[70:71], v[98:99]
	v_add_f64 v[70:71], v[70:71], -v[98:99]
	v_fma_f64 v[98:99], v[197:198], s[4:5], v[184:185]
	v_fma_f64 v[96:97], v[190:191], s[12:13], v[96:97]
	v_fma_f64 v[98:99], v[199:200], s[0:1], v[98:99]
	v_fma_f64 v[96:97], v[182:183], s[6:7], v[96:97]
	v_fma_f64 v[52:53], v[180:181], s[6:7], v[98:99]
	v_mul_f64 v[54:55], v[96:97], s[12:13]
	v_mul_f64 v[96:97], v[96:97], s[20:21]
	v_fma_f64 v[98:99], v[52:53], s[20:21], v[54:55]
	v_fma_f64 v[112:113], v[52:53], s[0:1], v[96:97]
	v_add_f64 v[52:53], v[104:105], v[98:99]
	v_add_f64 v[54:55], v[106:107], v[112:113]
	v_add_f64 v[96:97], v[104:105], -v[98:99]
	v_add_f64 v[98:99], v[106:107], -v[112:113]
	ds_write_b128 v196, v[160:163]
	ds_write_b128 v196, v[164:167] offset:400
	ds_write_b128 v196, v[168:171] offset:80
	;; [unrolled: 1-line block ×9, first 2 shown]
	s_waitcnt lgkmcnt(0)
	s_barrier
	buffer_gl0_inv
	ds_read_b128 v[52:55], v194 offset:2400
	ds_read_b128 v[56:59], v194
	ds_read_b128 v[64:67], v194 offset:4800
	ds_read_b128 v[68:71], v194 offset:7200
	s_waitcnt lgkmcnt(3)
	v_mul_f64 v[84:85], v[110:111], v[54:55]
	v_mul_f64 v[86:87], v[110:111], v[52:53]
	s_waitcnt lgkmcnt(0)
	v_mul_f64 v[96:97], v[90:91], v[70:71]
	v_mul_f64 v[90:91], v[90:91], v[68:69]
	v_fma_f64 v[84:85], v[108:109], v[52:53], v[84:85]
	v_fma_f64 v[86:87], v[108:109], v[54:55], -v[86:87]
	v_mul_f64 v[52:53], v[102:103], v[66:67]
	v_mul_f64 v[54:55], v[102:103], v[64:65]
	v_fma_f64 v[96:97], v[88:89], v[68:69], v[96:97]
	v_fma_f64 v[88:89], v[88:89], v[70:71], -v[90:91]
	v_fma_f64 v[98:99], v[100:101], v[64:65], v[52:53]
	v_fma_f64 v[100:101], v[100:101], v[66:67], -v[54:55]
	ds_read_b128 v[52:55], v194 offset:9600
	ds_read_b128 v[64:67], v194 offset:12000
	s_waitcnt lgkmcnt(1)
	v_mul_f64 v[68:69], v[94:95], v[54:55]
	v_mul_f64 v[70:71], v[94:95], v[52:53]
	s_waitcnt lgkmcnt(0)
	v_mul_f64 v[90:91], v[74:75], v[66:67]
	v_mul_f64 v[74:75], v[74:75], v[64:65]
	v_fma_f64 v[94:95], v[92:93], v[52:53], v[68:69]
	v_fma_f64 v[92:93], v[92:93], v[54:55], -v[70:71]
	ds_read_b128 v[52:55], v194 offset:14400
	ds_read_b128 v[68:71], v194 offset:16800
	v_fma_f64 v[90:91], v[72:73], v[64:65], v[90:91]
	v_fma_f64 v[72:73], v[72:73], v[66:67], -v[74:75]
	ds_read_b128 v[64:67], v194 offset:19200
	s_waitcnt lgkmcnt(2)
	v_mul_f64 v[74:75], v[82:83], v[54:55]
	v_mul_f64 v[82:83], v[82:83], v[52:53]
	v_fma_f64 v[74:75], v[80:81], v[52:53], v[74:75]
	v_fma_f64 v[80:81], v[80:81], v[54:55], -v[82:83]
	ds_read_b128 v[52:55], v194 offset:21600
	s_waitcnt lgkmcnt(1)
	v_mul_f64 v[82:83], v[78:79], v[66:67]
	v_mul_f64 v[78:79], v[78:79], v[64:65]
	s_waitcnt lgkmcnt(0)
	s_barrier
	buffer_gl0_inv
	v_fma_f64 v[64:65], v[76:77], v[64:65], v[82:83]
	v_fma_f64 v[66:67], v[76:77], v[66:67], -v[78:79]
	v_mul_f64 v[76:77], v[62:63], v[70:71]
	v_mul_f64 v[62:63], v[62:63], v[68:69]
	;; [unrolled: 1-line block ×4, first 2 shown]
	v_add_f64 v[102:103], v[64:65], -v[74:75]
	v_add_f64 v[82:83], v[100:101], v[66:67]
	v_fma_f64 v[68:69], v[60:61], v[68:69], v[76:77]
	v_fma_f64 v[60:61], v[60:61], v[70:71], -v[62:63]
	v_add_f64 v[62:63], v[94:95], v[74:75]
	v_add_f64 v[70:71], v[98:99], v[64:65]
	;; [unrolled: 1-line block ×3, first 2 shown]
	v_fma_f64 v[52:53], v[40:41], v[52:53], v[78:79]
	v_fma_f64 v[40:41], v[40:41], v[54:55], -v[42:43]
	v_add_f64 v[42:43], v[56:57], v[98:99]
	v_add_f64 v[54:55], v[58:59], v[100:101]
	v_add_f64 v[78:79], v[98:99], -v[94:95]
	v_add_f64 v[104:105], v[80:81], -v[66:67]
	v_fma_f64 v[62:63], v[62:63], -0.5, v[56:57]
	v_fma_f64 v[56:57], v[70:71], -0.5, v[56:57]
	;; [unrolled: 1-line block ×4, first 2 shown]
	v_add_f64 v[76:77], v[94:95], -v[98:99]
	v_add_f64 v[82:83], v[74:75], -v[64:65]
	;; [unrolled: 1-line block ×3, first 2 shown]
	v_add_f64 v[78:79], v[78:79], v[102:103]
	v_add_f64 v[102:103], v[100:101], -v[92:93]
	v_add_f64 v[42:43], v[42:43], v[94:95]
	v_add_f64 v[54:55], v[54:55], v[92:93]
	v_add_f64 v[108:109], v[68:69], -v[52:53]
	v_add_f64 v[94:95], v[94:95], -v[74:75]
	;; [unrolled: 1-line block ×4, first 2 shown]
	v_add_f64 v[76:77], v[76:77], v[82:83]
	v_add_f64 v[82:83], v[66:67], -v[80:81]
	v_add_f64 v[42:43], v[42:43], v[74:75]
	v_add_f64 v[74:75], v[92:93], -v[80:81]
	v_add_f64 v[54:55], v[54:55], v[80:81]
	v_add_f64 v[80:81], v[90:91], v[68:69]
	;; [unrolled: 1-line block ×3, first 2 shown]
	v_add_f64 v[102:103], v[92:93], -v[100:101]
	v_add_f64 v[92:93], v[96:97], v[52:53]
	v_add_f64 v[42:43], v[42:43], v[64:65]
	v_fma_f64 v[80:81], v[80:81], -0.5, v[84:85]
	v_add_f64 v[102:103], v[102:103], v[104:105]
	v_add_f64 v[104:105], v[96:97], -v[90:91]
	v_fma_f64 v[92:93], v[92:93], -0.5, v[84:85]
	v_add_f64 v[84:85], v[84:85], v[96:97]
	v_add_f64 v[104:105], v[104:105], v[106:107]
	v_add_f64 v[106:107], v[90:91], -v[96:97]
	v_add_f64 v[84:85], v[84:85], v[90:91]
	v_add_f64 v[90:91], v[90:91], -v[68:69]
	;; [unrolled: 2-line block ×3, first 2 shown]
	v_add_f64 v[68:69], v[84:85], v[68:69]
	v_add_f64 v[84:85], v[72:73], v[60:61]
	;; [unrolled: 1-line block ×3, first 2 shown]
	v_add_f64 v[110:111], v[72:73], -v[88:89]
	v_fma_f64 v[84:85], v[84:85], -0.5, v[86:87]
	v_add_f64 v[68:69], v[68:69], v[52:53]
	v_add_f64 v[110:111], v[110:111], v[112:113]
	;; [unrolled: 1-line block ×3, first 2 shown]
	v_fma_f64 v[112:113], v[112:113], -0.5, v[86:87]
	v_add_f64 v[86:87], v[86:87], v[88:89]
	v_add_f64 v[88:89], v[88:89], -v[40:41]
	v_add_f64 v[86:87], v[86:87], v[72:73]
	v_add_f64 v[72:73], v[72:73], -v[60:61]
	;; [unrolled: 2-line block ×3, first 2 shown]
	v_add_f64 v[64:65], v[100:101], -v[66:67]
	v_fma_f64 v[100:101], v[74:75], s[4:5], v[56:57]
	v_fma_f64 v[56:57], v[74:75], s[14:15], v[56:57]
	v_add_f64 v[40:41], v[60:61], v[40:41]
	v_fma_f64 v[98:99], v[64:65], s[14:15], v[62:63]
	v_fma_f64 v[62:63], v[64:65], s[4:5], v[62:63]
	;; [unrolled: 1-line block ×6, first 2 shown]
	v_add_f64 v[64:65], v[54:55], v[66:67]
	v_add_f64 v[54:55], v[96:97], -v[52:53]
	v_fma_f64 v[66:67], v[90:91], s[14:15], v[112:113]
	v_fma_f64 v[96:97], v[90:91], s[4:5], v[112:113]
	;; [unrolled: 1-line block ×30, first 2 shown]
	v_mul_f64 v[80:81], v[92:93], s[12:13]
	v_fma_f64 v[96:97], v[94:95], s[0:1], v[96:97]
	v_mul_f64 v[90:91], v[92:93], s[16:17]
	v_fma_f64 v[70:71], v[94:95], s[12:13], v[70:71]
	v_fma_f64 v[94:95], v[86:87], s[0:1], v[100:101]
	;; [unrolled: 1-line block ×3, first 2 shown]
	v_mul_f64 v[86:87], v[66:67], s[14:15]
	v_mul_f64 v[66:67], v[66:67], s[6:7]
	;; [unrolled: 1-line block ×6, first 2 shown]
	v_fma_f64 v[104:105], v[78:79], s[6:7], v[62:63]
	v_fma_f64 v[80:81], v[52:53], s[16:17], v[80:81]
	v_fma_f64 v[78:79], v[82:83], s[6:7], v[96:97]
	v_fma_f64 v[90:91], v[52:53], s[0:1], v[90:91]
	v_fma_f64 v[96:97], v[76:77], s[6:7], v[56:57]
	v_fma_f64 v[94:95], v[102:103], s[6:7], v[94:95]
	v_fma_f64 v[102:103], v[102:103], s[6:7], v[58:59]
	v_fma_f64 v[86:87], v[60:61], s[6:7], v[86:87]
	v_fma_f64 v[106:107], v[60:61], s[4:5], v[66:67]
	v_fma_f64 v[92:93], v[88:89], s[18:19], v[92:93]
	v_fma_f64 v[88:89], v[88:89], s[4:5], v[54:55]
	v_fma_f64 v[108:109], v[82:83], s[6:7], v[70:71]
	v_fma_f64 v[100:101], v[72:73], s[20:21], v[100:101]
	v_fma_f64 v[110:111], v[72:73], s[0:1], v[84:85]
	v_add_f64 v[52:53], v[42:43], v[68:69]
	v_add_f64 v[54:55], v[64:65], v[40:41]
	v_add_f64 v[56:57], v[42:43], -v[68:69]
	v_add_f64 v[58:59], v[64:65], -v[40:41]
	v_add_f64 v[60:61], v[98:99], v[80:81]
	v_add_f64 v[68:69], v[98:99], -v[80:81]
	v_add_f64 v[62:63], v[78:79], v[90:91]
	;; [unrolled: 2-line block ×3, first 2 shown]
	v_add_f64 v[66:67], v[94:95], v[106:107]
	v_add_f64 v[72:73], v[96:97], v[92:93]
	v_add_f64 v[76:77], v[74:75], -v[86:87]
	v_add_f64 v[74:75], v[102:103], v[88:89]
	v_add_f64 v[80:81], v[104:105], v[100:101]
	;; [unrolled: 1-line block ×3, first 2 shown]
	v_add_f64 v[78:79], v[94:95], -v[106:107]
	v_add_f64 v[84:85], v[96:97], -v[92:93]
	;; [unrolled: 1-line block ×5, first 2 shown]
	ds_write_b128 v195, v[52:55]
	ds_write_b128 v195, v[56:59] offset:4000
	ds_write_b128 v195, v[60:63] offset:800
	;; [unrolled: 1-line block ×9, first 2 shown]
	s_waitcnt lgkmcnt(0)
	s_barrier
	buffer_gl0_inv
	ds_read_b128 v[52:55], v194
	ds_read_b128 v[56:59], v194 offset:2400
	ds_read_b128 v[64:67], v194 offset:16000
	;; [unrolled: 1-line block ×8, first 2 shown]
	s_and_saveexec_b32 s0, vcc_lo
	s_cbranch_execz .LBB0_7
; %bb.6:
	ds_read_b128 v[40:43], v194 offset:7200
	ds_read_b128 v[144:147], v194 offset:15200
	;; [unrolled: 1-line block ×3, first 2 shown]
.LBB0_7:
	s_or_b32 exec_lo, exec_lo, s0
	s_waitcnt lgkmcnt(4)
	v_mul_f64 v[88:89], v[122:123], v[86:87]
	v_mul_f64 v[90:91], v[126:127], v[66:67]
	;; [unrolled: 1-line block ×4, first 2 shown]
	s_waitcnt lgkmcnt(2)
	v_mul_f64 v[96:97], v[130:131], v[82:83]
	v_mul_f64 v[98:99], v[134:135], v[70:71]
	;; [unrolled: 1-line block ×4, first 2 shown]
	s_waitcnt lgkmcnt(1)
	v_mul_f64 v[104:105], v[138:139], v[74:75]
	s_waitcnt lgkmcnt(0)
	v_mul_f64 v[106:107], v[142:143], v[78:79]
	v_mul_f64 v[108:109], v[138:139], v[72:73]
	;; [unrolled: 1-line block ×3, first 2 shown]
	s_mov_b32 s0, 0xe8584caa
	s_mov_b32 s1, 0xbfebb67a
	;; [unrolled: 1-line block ×4, first 2 shown]
	v_fma_f64 v[84:85], v[120:121], v[84:85], v[88:89]
	v_fma_f64 v[64:65], v[124:125], v[64:65], v[90:91]
	v_fma_f64 v[86:87], v[120:121], v[86:87], -v[92:93]
	v_fma_f64 v[66:67], v[124:125], v[66:67], -v[94:95]
	v_fma_f64 v[80:81], v[128:129], v[80:81], v[96:97]
	v_fma_f64 v[68:69], v[132:133], v[68:69], v[98:99]
	v_fma_f64 v[82:83], v[128:129], v[82:83], -v[100:101]
	v_fma_f64 v[70:71], v[132:133], v[70:71], -v[102:103]
	;; [unrolled: 4-line block ×3, first 2 shown]
	v_add_f64 v[100:101], v[52:53], v[84:85]
	v_add_f64 v[88:89], v[84:85], v[64:65]
	v_add_f64 v[84:85], v[84:85], -v[64:65]
	v_add_f64 v[90:91], v[86:87], v[66:67]
	v_add_f64 v[102:103], v[86:87], -v[66:67]
	v_add_f64 v[92:93], v[80:81], v[68:69]
	v_add_f64 v[86:87], v[54:55], v[86:87]
	;; [unrolled: 1-line block ×9, first 2 shown]
	v_add_f64 v[82:83], v[82:83], -v[70:71]
	v_add_f64 v[80:81], v[80:81], -v[68:69]
	;; [unrolled: 1-line block ×4, first 2 shown]
	v_fma_f64 v[88:89], v[88:89], -0.5, v[52:53]
	v_add_f64 v[52:53], v[100:101], v[64:65]
	v_fma_f64 v[90:91], v[90:91], -0.5, v[54:55]
	v_fma_f64 v[92:93], v[92:93], -0.5, v[56:57]
	v_add_f64 v[54:55], v[86:87], v[66:67]
	v_fma_f64 v[94:95], v[94:95], -0.5, v[58:59]
	v_add_f64 v[56:57], v[104:105], v[68:69]
	;; [unrolled: 2-line block ×4, first 2 shown]
	v_add_f64 v[62:63], v[110:111], v[78:79]
	v_fma_f64 v[64:65], v[102:103], s[0:1], v[88:89]
	v_fma_f64 v[68:69], v[102:103], s[4:5], v[88:89]
	;; [unrolled: 1-line block ×12, first 2 shown]
	ds_write_b128 v194, v[52:55]
	ds_write_b128 v194, v[56:59] offset:2400
	ds_write_b128 v194, v[60:63] offset:4800
	;; [unrolled: 1-line block ×8, first 2 shown]
	s_and_saveexec_b32 s6, vcc_lo
	s_cbranch_execz .LBB0_9
; %bb.8:
	v_mul_f64 v[52:53], v[46:47], v[144:145]
	v_mul_f64 v[54:55], v[50:51], v[148:149]
	;; [unrolled: 1-line block ×4, first 2 shown]
	v_fma_f64 v[52:53], v[44:45], v[146:147], -v[52:53]
	v_fma_f64 v[54:55], v[48:49], v[150:151], -v[54:55]
	v_fma_f64 v[44:45], v[44:45], v[144:145], v[46:47]
	v_fma_f64 v[46:47], v[48:49], v[148:149], v[50:51]
	v_add_f64 v[58:59], v[42:43], v[52:53]
	v_add_f64 v[48:49], v[52:53], v[54:55]
	v_add_f64 v[52:53], v[52:53], -v[54:55]
	v_add_f64 v[50:51], v[44:45], v[46:47]
	v_add_f64 v[56:57], v[44:45], -v[46:47]
	v_add_f64 v[44:45], v[40:41], v[44:45]
	v_fma_f64 v[48:49], v[48:49], -0.5, v[42:43]
	v_add_f64 v[42:43], v[58:59], v[54:55]
	v_fma_f64 v[60:61], v[50:51], -0.5, v[40:41]
	v_add_f64 v[40:41], v[44:45], v[46:47]
	v_fma_f64 v[46:47], v[56:57], s[0:1], v[48:49]
	v_fma_f64 v[50:51], v[56:57], s[4:5], v[48:49]
	;; [unrolled: 1-line block ×4, first 2 shown]
	ds_write_b128 v194, v[40:43] offset:7200
	ds_write_b128 v194, v[48:51] offset:15200
	;; [unrolled: 1-line block ×3, first 2 shown]
.LBB0_9:
	s_or_b32 exec_lo, exec_lo, s6
	s_waitcnt lgkmcnt(0)
	s_barrier
	buffer_gl0_inv
	ds_read_b128 v[40:43], v194
	ds_read_b128 v[44:47], v194 offset:4800
	ds_read_b128 v[48:51], v194 offset:2400
	;; [unrolled: 1-line block ×5, first 2 shown]
	v_mad_u64_u32 v[80:81], null, s10, v192, 0
	ds_read_b128 v[64:67], v194 offset:19200
	v_mad_u64_u32 v[86:87], null, s8, v193, 0
	ds_read_b128 v[68:71], v194 offset:12000
	ds_read_b128 v[72:75], v194 offset:16800
	;; [unrolled: 1-line block ×3, first 2 shown]
	s_mov_b32 s0, 0xc3ece2a5
	s_mov_b32 s1, 0x3f45d867
	s_mul_i32 s4, s9, 0x12c0
	s_mul_hi_u32 s5, s8, 0x12c0
	s_mul_i32 s6, s8, 0x12c0
	s_add_i32 s5, s5, s4
	s_waitcnt lgkmcnt(9)
	v_mul_f64 v[82:83], v[2:3], v[42:43]
	v_mul_f64 v[2:3], v[2:3], v[40:41]
	s_waitcnt lgkmcnt(8)
	v_mul_f64 v[84:85], v[38:39], v[46:47]
	v_mul_f64 v[38:39], v[38:39], v[44:45]
	;; [unrolled: 3-line block ×3, first 2 shown]
	v_fma_f64 v[40:41], v[0:1], v[40:41], v[82:83]
	v_fma_f64 v[2:3], v[0:1], v[42:43], -v[2:3]
	v_fma_f64 v[42:43], v[36:37], v[44:45], v[84:85]
	v_fma_f64 v[38:39], v[36:37], v[46:47], -v[38:39]
	v_mad_u64_u32 v[88:89], null, s11, v192, v[81:82]
	v_mul_f64 v[44:45], v[22:23], v[58:59]
	v_mul_f64 v[22:23], v[22:23], v[56:57]
	;; [unrolled: 1-line block ×6, first 2 shown]
	v_mad_u64_u32 v[89:90], null, s9, v193, v[87:88]
	v_mov_b32_e32 v81, v88
	v_mul_f64 v[84:85], v[6:7], v[50:51]
	v_mul_f64 v[6:7], v[6:7], v[48:49]
	;; [unrolled: 1-line block ×4, first 2 shown]
	v_lshlrev_b64 v[80:81], 4, v[80:81]
	v_mov_b32_e32 v87, v89
	s_waitcnt lgkmcnt(1)
	v_mul_f64 v[88:89], v[30:31], v[74:75]
	v_mul_f64 v[0:1], v[40:41], s[0:1]
	;; [unrolled: 1-line block ×6, first 2 shown]
	v_lshlrev_b64 v[86:87], 4, v[86:87]
	s_waitcnt lgkmcnt(0)
	v_mul_f64 v[40:41], v[34:35], v[78:79]
	v_mul_f64 v[34:35], v[34:35], v[76:77]
	v_add_co_u32 v42, vcc_lo, s2, v80
	v_add_co_ci_u32_e32 v43, vcc_lo, s3, v81, vcc_lo
	v_fma_f64 v[44:45], v[20:21], v[56:57], v[44:45]
	v_fma_f64 v[20:21], v[20:21], v[58:59], -v[22:23]
	v_add_co_u32 v42, vcc_lo, v42, v86
	v_add_co_ci_u32_e32 v43, vcc_lo, v43, v87, vcc_lo
	v_fma_f64 v[22:23], v[24:25], v[60:61], v[46:47]
	v_add_co_u32 v80, vcc_lo, v42, s6
	v_add_co_ci_u32_e32 v81, vcc_lo, s5, v43, vcc_lo
	v_fma_f64 v[24:25], v[24:25], v[62:63], -v[26:27]
	v_add_co_u32 v46, vcc_lo, v80, s6
	v_add_co_ci_u32_e32 v47, vcc_lo, s5, v81, vcc_lo
	global_store_dwordx4 v[42:43], v[0:3], off
	global_store_dwordx4 v[80:81], v[36:39], off
	v_fma_f64 v[26:27], v[16:17], v[64:65], v[82:83]
	v_fma_f64 v[16:17], v[16:17], v[66:67], -v[18:19]
	v_fma_f64 v[18:19], v[4:5], v[48:49], v[84:85]
	v_fma_f64 v[38:39], v[4:5], v[50:51], -v[6:7]
	;; [unrolled: 2-line block ×4, first 2 shown]
	v_add_co_u32 v36, vcc_lo, v46, s6
	v_fma_f64 v[54:55], v[28:29], v[72:73], v[88:89]
	v_fma_f64 v[28:29], v[28:29], v[74:75], -v[30:31]
	v_fma_f64 v[30:31], v[32:33], v[76:77], v[40:41]
	v_fma_f64 v[32:33], v[32:33], v[78:79], -v[34:35]
	v_add_co_ci_u32_e32 v37, vcc_lo, s5, v47, vcc_lo
	v_add_co_u32 v34, vcc_lo, v36, s6
	v_mul_f64 v[0:1], v[44:45], s[0:1]
	v_mul_f64 v[2:3], v[20:21], s[0:1]
	v_add_co_ci_u32_e32 v35, vcc_lo, s5, v37, vcc_lo
	v_mul_f64 v[4:5], v[22:23], s[0:1]
	v_mul_f64 v[6:7], v[24:25], s[0:1]
	s_mul_i32 s2, s9, 0xffffbe60
	v_mad_u64_u32 v[40:41], null, 0xffffbe60, s8, v[34:35]
	s_sub_i32 s2, s2, s8
	v_mul_f64 v[8:9], v[26:27], s[0:1]
	v_mul_f64 v[10:11], v[16:17], s[0:1]
	;; [unrolled: 1-line block ×5, first 2 shown]
	v_add_nc_u32_e32 v41, s2, v41
	v_mul_f64 v[18:19], v[48:49], s[0:1]
	v_mul_f64 v[20:21], v[50:51], s[0:1]
	;; [unrolled: 1-line block ×7, first 2 shown]
	v_add_co_u32 v32, vcc_lo, v40, s6
	v_add_co_ci_u32_e32 v33, vcc_lo, s5, v41, vcc_lo
	global_store_dwordx4 v[46:47], v[0:3], off
	v_add_co_u32 v0, vcc_lo, v32, s6
	v_add_co_ci_u32_e32 v1, vcc_lo, s5, v33, vcc_lo
	global_store_dwordx4 v[36:37], v[4:7], off
	;; [unrolled: 3-line block ×4, first 2 shown]
	global_store_dwordx4 v[32:33], v[16:19], off
	global_store_dwordx4 v[0:1], v[20:23], off
	;; [unrolled: 1-line block ×4, first 2 shown]
.LBB0_10:
	s_endpgm
	.section	.rodata,"a",@progbits
	.p2align	6, 0x0
	.amdhsa_kernel bluestein_single_fwd_len1500_dim1_dp_op_CI_CI
		.amdhsa_group_segment_fixed_size 24000
		.amdhsa_private_segment_fixed_size 0
		.amdhsa_kernarg_size 104
		.amdhsa_user_sgpr_count 6
		.amdhsa_user_sgpr_private_segment_buffer 1
		.amdhsa_user_sgpr_dispatch_ptr 0
		.amdhsa_user_sgpr_queue_ptr 0
		.amdhsa_user_sgpr_kernarg_segment_ptr 1
		.amdhsa_user_sgpr_dispatch_id 0
		.amdhsa_user_sgpr_flat_scratch_init 0
		.amdhsa_user_sgpr_private_segment_size 0
		.amdhsa_wavefront_size32 1
		.amdhsa_uses_dynamic_stack 0
		.amdhsa_system_sgpr_private_segment_wavefront_offset 0
		.amdhsa_system_sgpr_workgroup_id_x 1
		.amdhsa_system_sgpr_workgroup_id_y 0
		.amdhsa_system_sgpr_workgroup_id_z 0
		.amdhsa_system_sgpr_workgroup_info 0
		.amdhsa_system_vgpr_workitem_id 0
		.amdhsa_next_free_vgpr 251
		.amdhsa_next_free_sgpr 22
		.amdhsa_reserve_vcc 1
		.amdhsa_reserve_flat_scratch 0
		.amdhsa_float_round_mode_32 0
		.amdhsa_float_round_mode_16_64 0
		.amdhsa_float_denorm_mode_32 3
		.amdhsa_float_denorm_mode_16_64 3
		.amdhsa_dx10_clamp 1
		.amdhsa_ieee_mode 1
		.amdhsa_fp16_overflow 0
		.amdhsa_workgroup_processor_mode 1
		.amdhsa_memory_ordered 1
		.amdhsa_forward_progress 0
		.amdhsa_shared_vgpr_count 0
		.amdhsa_exception_fp_ieee_invalid_op 0
		.amdhsa_exception_fp_denorm_src 0
		.amdhsa_exception_fp_ieee_div_zero 0
		.amdhsa_exception_fp_ieee_overflow 0
		.amdhsa_exception_fp_ieee_underflow 0
		.amdhsa_exception_fp_ieee_inexact 0
		.amdhsa_exception_int_div_zero 0
	.end_amdhsa_kernel
	.text
.Lfunc_end0:
	.size	bluestein_single_fwd_len1500_dim1_dp_op_CI_CI, .Lfunc_end0-bluestein_single_fwd_len1500_dim1_dp_op_CI_CI
                                        ; -- End function
	.section	.AMDGPU.csdata,"",@progbits
; Kernel info:
; codeLenInByte = 14728
; NumSgprs: 24
; NumVgprs: 251
; ScratchSize: 0
; MemoryBound: 0
; FloatMode: 240
; IeeeMode: 1
; LDSByteSize: 24000 bytes/workgroup (compile time only)
; SGPRBlocks: 2
; VGPRBlocks: 31
; NumSGPRsForWavesPerEU: 24
; NumVGPRsForWavesPerEU: 251
; Occupancy: 4
; WaveLimiterHint : 1
; COMPUTE_PGM_RSRC2:SCRATCH_EN: 0
; COMPUTE_PGM_RSRC2:USER_SGPR: 6
; COMPUTE_PGM_RSRC2:TRAP_HANDLER: 0
; COMPUTE_PGM_RSRC2:TGID_X_EN: 1
; COMPUTE_PGM_RSRC2:TGID_Y_EN: 0
; COMPUTE_PGM_RSRC2:TGID_Z_EN: 0
; COMPUTE_PGM_RSRC2:TIDIG_COMP_CNT: 0
	.text
	.p2alignl 6, 3214868480
	.fill 48, 4, 3214868480
	.type	__hip_cuid_3d6dece01d75891f,@object ; @__hip_cuid_3d6dece01d75891f
	.section	.bss,"aw",@nobits
	.globl	__hip_cuid_3d6dece01d75891f
__hip_cuid_3d6dece01d75891f:
	.byte	0                               ; 0x0
	.size	__hip_cuid_3d6dece01d75891f, 1

	.ident	"AMD clang version 19.0.0git (https://github.com/RadeonOpenCompute/llvm-project roc-6.4.0 25133 c7fe45cf4b819c5991fe208aaa96edf142730f1d)"
	.section	".note.GNU-stack","",@progbits
	.addrsig
	.addrsig_sym __hip_cuid_3d6dece01d75891f
	.amdgpu_metadata
---
amdhsa.kernels:
  - .args:
      - .actual_access:  read_only
        .address_space:  global
        .offset:         0
        .size:           8
        .value_kind:     global_buffer
      - .actual_access:  read_only
        .address_space:  global
        .offset:         8
        .size:           8
        .value_kind:     global_buffer
      - .actual_access:  read_only
        .address_space:  global
        .offset:         16
        .size:           8
        .value_kind:     global_buffer
      - .actual_access:  read_only
        .address_space:  global
        .offset:         24
        .size:           8
        .value_kind:     global_buffer
      - .actual_access:  read_only
        .address_space:  global
        .offset:         32
        .size:           8
        .value_kind:     global_buffer
      - .offset:         40
        .size:           8
        .value_kind:     by_value
      - .address_space:  global
        .offset:         48
        .size:           8
        .value_kind:     global_buffer
      - .address_space:  global
        .offset:         56
        .size:           8
        .value_kind:     global_buffer
      - .address_space:  global
        .offset:         64
        .size:           8
        .value_kind:     global_buffer
      - .address_space:  global
        .offset:         72
        .size:           8
        .value_kind:     global_buffer
      - .offset:         80
        .size:           4
        .value_kind:     by_value
      - .address_space:  global
        .offset:         88
        .size:           8
        .value_kind:     global_buffer
      - .address_space:  global
        .offset:         96
        .size:           8
        .value_kind:     global_buffer
    .group_segment_fixed_size: 24000
    .kernarg_segment_align: 8
    .kernarg_segment_size: 104
    .language:       OpenCL C
    .language_version:
      - 2
      - 0
    .max_flat_workgroup_size: 150
    .name:           bluestein_single_fwd_len1500_dim1_dp_op_CI_CI
    .private_segment_fixed_size: 0
    .sgpr_count:     24
    .sgpr_spill_count: 0
    .symbol:         bluestein_single_fwd_len1500_dim1_dp_op_CI_CI.kd
    .uniform_work_group_size: 1
    .uses_dynamic_stack: false
    .vgpr_count:     251
    .vgpr_spill_count: 0
    .wavefront_size: 32
    .workgroup_processor_mode: 1
amdhsa.target:   amdgcn-amd-amdhsa--gfx1030
amdhsa.version:
  - 1
  - 2
...

	.end_amdgpu_metadata
